;; amdgpu-corpus repo=ROCm/rocFFT kind=compiled arch=gfx1201 opt=O3
	.text
	.amdgcn_target "amdgcn-amd-amdhsa--gfx1201"
	.amdhsa_code_object_version 6
	.protected	fft_rtc_back_len2160_factors_10_6_6_6_wgs_60_tpt_60_halfLds_half_ip_CI_unitstride_sbrr_dirReg ; -- Begin function fft_rtc_back_len2160_factors_10_6_6_6_wgs_60_tpt_60_halfLds_half_ip_CI_unitstride_sbrr_dirReg
	.globl	fft_rtc_back_len2160_factors_10_6_6_6_wgs_60_tpt_60_halfLds_half_ip_CI_unitstride_sbrr_dirReg
	.p2align	8
	.type	fft_rtc_back_len2160_factors_10_6_6_6_wgs_60_tpt_60_halfLds_half_ip_CI_unitstride_sbrr_dirReg,@function
fft_rtc_back_len2160_factors_10_6_6_6_wgs_60_tpt_60_halfLds_half_ip_CI_unitstride_sbrr_dirReg: ; @fft_rtc_back_len2160_factors_10_6_6_6_wgs_60_tpt_60_halfLds_half_ip_CI_unitstride_sbrr_dirReg
; %bb.0:
	s_clause 0x2
	s_load_b128 s[4:7], s[0:1], 0x0
	s_load_b64 s[8:9], s[0:1], 0x50
	s_load_b64 s[10:11], s[0:1], 0x18
	v_mul_u32_u24_e32 v1, 0x445, v0
	v_mov_b32_e32 v3, 0
	s_delay_alu instid0(VALU_DEP_2) | instskip(NEXT) | instid1(VALU_DEP_1)
	v_lshrrev_b32_e32 v1, 16, v1
	v_add_nc_u32_e32 v5, ttmp9, v1
	v_mov_b32_e32 v1, 0
	v_mov_b32_e32 v2, 0
	;; [unrolled: 1-line block ×3, first 2 shown]
	s_wait_kmcnt 0x0
	v_cmp_lt_u64_e64 s2, s[6:7], 2
	s_delay_alu instid0(VALU_DEP_1)
	s_and_b32 vcc_lo, exec_lo, s2
	s_cbranch_vccnz .LBB0_8
; %bb.1:
	s_load_b64 s[2:3], s[0:1], 0x10
	v_mov_b32_e32 v1, 0
	v_mov_b32_e32 v2, 0
	s_add_nc_u64 s[12:13], s[10:11], 8
	s_mov_b64 s[14:15], 1
	s_wait_kmcnt 0x0
	s_add_nc_u64 s[16:17], s[2:3], 8
	s_mov_b32 s3, 0
.LBB0_2:                                ; =>This Inner Loop Header: Depth=1
	s_load_b64 s[18:19], s[16:17], 0x0
                                        ; implicit-def: $vgpr7_vgpr8
	s_mov_b32 s2, exec_lo
	s_wait_kmcnt 0x0
	v_or_b32_e32 v4, s19, v6
	s_delay_alu instid0(VALU_DEP_1)
	v_cmpx_ne_u64_e32 0, v[3:4]
	s_wait_alu 0xfffe
	s_xor_b32 s20, exec_lo, s2
	s_cbranch_execz .LBB0_4
; %bb.3:                                ;   in Loop: Header=BB0_2 Depth=1
	s_cvt_f32_u32 s2, s18
	s_cvt_f32_u32 s21, s19
	s_sub_nc_u64 s[24:25], 0, s[18:19]
	s_wait_alu 0xfffe
	s_delay_alu instid0(SALU_CYCLE_1) | instskip(SKIP_1) | instid1(SALU_CYCLE_2)
	s_fmamk_f32 s2, s21, 0x4f800000, s2
	s_wait_alu 0xfffe
	v_s_rcp_f32 s2, s2
	s_delay_alu instid0(TRANS32_DEP_1) | instskip(SKIP_1) | instid1(SALU_CYCLE_2)
	s_mul_f32 s2, s2, 0x5f7ffffc
	s_wait_alu 0xfffe
	s_mul_f32 s21, s2, 0x2f800000
	s_wait_alu 0xfffe
	s_delay_alu instid0(SALU_CYCLE_2) | instskip(SKIP_1) | instid1(SALU_CYCLE_2)
	s_trunc_f32 s21, s21
	s_wait_alu 0xfffe
	s_fmamk_f32 s2, s21, 0xcf800000, s2
	s_cvt_u32_f32 s23, s21
	s_wait_alu 0xfffe
	s_delay_alu instid0(SALU_CYCLE_1) | instskip(SKIP_1) | instid1(SALU_CYCLE_2)
	s_cvt_u32_f32 s22, s2
	s_wait_alu 0xfffe
	s_mul_u64 s[26:27], s[24:25], s[22:23]
	s_wait_alu 0xfffe
	s_mul_hi_u32 s29, s22, s27
	s_mul_i32 s28, s22, s27
	s_mul_hi_u32 s2, s22, s26
	s_mul_i32 s30, s23, s26
	s_wait_alu 0xfffe
	s_add_nc_u64 s[28:29], s[2:3], s[28:29]
	s_mul_hi_u32 s21, s23, s26
	s_mul_hi_u32 s31, s23, s27
	s_add_co_u32 s2, s28, s30
	s_wait_alu 0xfffe
	s_add_co_ci_u32 s2, s29, s21
	s_mul_i32 s26, s23, s27
	s_add_co_ci_u32 s27, s31, 0
	s_wait_alu 0xfffe
	s_add_nc_u64 s[26:27], s[2:3], s[26:27]
	s_wait_alu 0xfffe
	v_add_co_u32 v4, s2, s22, s26
	s_delay_alu instid0(VALU_DEP_1) | instskip(SKIP_1) | instid1(VALU_DEP_1)
	s_cmp_lg_u32 s2, 0
	s_add_co_ci_u32 s23, s23, s27
	v_readfirstlane_b32 s22, v4
	s_wait_alu 0xfffe
	s_delay_alu instid0(VALU_DEP_1)
	s_mul_u64 s[24:25], s[24:25], s[22:23]
	s_wait_alu 0xfffe
	s_mul_hi_u32 s27, s22, s25
	s_mul_i32 s26, s22, s25
	s_mul_hi_u32 s2, s22, s24
	s_mul_i32 s28, s23, s24
	s_wait_alu 0xfffe
	s_add_nc_u64 s[26:27], s[2:3], s[26:27]
	s_mul_hi_u32 s21, s23, s24
	s_mul_hi_u32 s22, s23, s25
	s_wait_alu 0xfffe
	s_add_co_u32 s2, s26, s28
	s_add_co_ci_u32 s2, s27, s21
	s_mul_i32 s24, s23, s25
	s_add_co_ci_u32 s25, s22, 0
	s_wait_alu 0xfffe
	s_add_nc_u64 s[24:25], s[2:3], s[24:25]
	s_wait_alu 0xfffe
	v_add_co_u32 v4, s2, v4, s24
	s_delay_alu instid0(VALU_DEP_1) | instskip(SKIP_1) | instid1(VALU_DEP_1)
	s_cmp_lg_u32 s2, 0
	s_add_co_ci_u32 s2, s23, s25
	v_mul_hi_u32 v13, v5, v4
	s_wait_alu 0xfffe
	v_mad_co_u64_u32 v[7:8], null, v5, s2, 0
	v_mad_co_u64_u32 v[9:10], null, v6, v4, 0
	;; [unrolled: 1-line block ×3, first 2 shown]
	s_delay_alu instid0(VALU_DEP_3) | instskip(SKIP_1) | instid1(VALU_DEP_4)
	v_add_co_u32 v4, vcc_lo, v13, v7
	s_wait_alu 0xfffd
	v_add_co_ci_u32_e32 v7, vcc_lo, 0, v8, vcc_lo
	s_delay_alu instid0(VALU_DEP_2) | instskip(SKIP_1) | instid1(VALU_DEP_2)
	v_add_co_u32 v4, vcc_lo, v4, v9
	s_wait_alu 0xfffd
	v_add_co_ci_u32_e32 v4, vcc_lo, v7, v10, vcc_lo
	s_wait_alu 0xfffd
	v_add_co_ci_u32_e32 v7, vcc_lo, 0, v12, vcc_lo
	s_delay_alu instid0(VALU_DEP_2) | instskip(SKIP_1) | instid1(VALU_DEP_2)
	v_add_co_u32 v4, vcc_lo, v4, v11
	s_wait_alu 0xfffd
	v_add_co_ci_u32_e32 v9, vcc_lo, 0, v7, vcc_lo
	s_delay_alu instid0(VALU_DEP_2) | instskip(SKIP_1) | instid1(VALU_DEP_3)
	v_mul_lo_u32 v10, s19, v4
	v_mad_co_u64_u32 v[7:8], null, s18, v4, 0
	v_mul_lo_u32 v11, s18, v9
	s_delay_alu instid0(VALU_DEP_2) | instskip(NEXT) | instid1(VALU_DEP_2)
	v_sub_co_u32 v7, vcc_lo, v5, v7
	v_add3_u32 v8, v8, v11, v10
	s_delay_alu instid0(VALU_DEP_1) | instskip(SKIP_1) | instid1(VALU_DEP_1)
	v_sub_nc_u32_e32 v10, v6, v8
	s_wait_alu 0xfffd
	v_subrev_co_ci_u32_e64 v10, s2, s19, v10, vcc_lo
	v_add_co_u32 v11, s2, v4, 2
	s_wait_alu 0xf1ff
	v_add_co_ci_u32_e64 v12, s2, 0, v9, s2
	v_sub_co_u32 v13, s2, v7, s18
	v_sub_co_ci_u32_e32 v8, vcc_lo, v6, v8, vcc_lo
	s_wait_alu 0xf1ff
	v_subrev_co_ci_u32_e64 v10, s2, 0, v10, s2
	s_delay_alu instid0(VALU_DEP_3) | instskip(NEXT) | instid1(VALU_DEP_3)
	v_cmp_le_u32_e32 vcc_lo, s18, v13
	v_cmp_eq_u32_e64 s2, s19, v8
	s_wait_alu 0xfffd
	v_cndmask_b32_e64 v13, 0, -1, vcc_lo
	v_cmp_le_u32_e32 vcc_lo, s19, v10
	s_wait_alu 0xfffd
	v_cndmask_b32_e64 v14, 0, -1, vcc_lo
	v_cmp_le_u32_e32 vcc_lo, s18, v7
	;; [unrolled: 3-line block ×3, first 2 shown]
	s_wait_alu 0xfffd
	v_cndmask_b32_e64 v15, 0, -1, vcc_lo
	v_cmp_eq_u32_e32 vcc_lo, s19, v10
	s_wait_alu 0xf1ff
	s_delay_alu instid0(VALU_DEP_2)
	v_cndmask_b32_e64 v7, v15, v7, s2
	s_wait_alu 0xfffd
	v_cndmask_b32_e32 v10, v14, v13, vcc_lo
	v_add_co_u32 v13, vcc_lo, v4, 1
	s_wait_alu 0xfffd
	v_add_co_ci_u32_e32 v14, vcc_lo, 0, v9, vcc_lo
	s_delay_alu instid0(VALU_DEP_3) | instskip(SKIP_2) | instid1(VALU_DEP_3)
	v_cmp_ne_u32_e32 vcc_lo, 0, v10
	s_wait_alu 0xfffd
	v_cndmask_b32_e32 v10, v13, v11, vcc_lo
	v_cndmask_b32_e32 v8, v14, v12, vcc_lo
	v_cmp_ne_u32_e32 vcc_lo, 0, v7
	s_wait_alu 0xfffd
	s_delay_alu instid0(VALU_DEP_2)
	v_dual_cndmask_b32 v7, v4, v10 :: v_dual_cndmask_b32 v8, v9, v8
.LBB0_4:                                ;   in Loop: Header=BB0_2 Depth=1
	s_wait_alu 0xfffe
	s_and_not1_saveexec_b32 s2, s20
	s_cbranch_execz .LBB0_6
; %bb.5:                                ;   in Loop: Header=BB0_2 Depth=1
	v_cvt_f32_u32_e32 v4, s18
	s_sub_co_i32 s20, 0, s18
	s_delay_alu instid0(VALU_DEP_1) | instskip(NEXT) | instid1(TRANS32_DEP_1)
	v_rcp_iflag_f32_e32 v4, v4
	v_mul_f32_e32 v4, 0x4f7ffffe, v4
	s_delay_alu instid0(VALU_DEP_1) | instskip(SKIP_1) | instid1(VALU_DEP_1)
	v_cvt_u32_f32_e32 v4, v4
	s_wait_alu 0xfffe
	v_mul_lo_u32 v7, s20, v4
	s_delay_alu instid0(VALU_DEP_1) | instskip(NEXT) | instid1(VALU_DEP_1)
	v_mul_hi_u32 v7, v4, v7
	v_add_nc_u32_e32 v4, v4, v7
	s_delay_alu instid0(VALU_DEP_1) | instskip(NEXT) | instid1(VALU_DEP_1)
	v_mul_hi_u32 v4, v5, v4
	v_mul_lo_u32 v7, v4, s18
	v_add_nc_u32_e32 v8, 1, v4
	s_delay_alu instid0(VALU_DEP_2) | instskip(NEXT) | instid1(VALU_DEP_1)
	v_sub_nc_u32_e32 v7, v5, v7
	v_subrev_nc_u32_e32 v9, s18, v7
	v_cmp_le_u32_e32 vcc_lo, s18, v7
	s_wait_alu 0xfffd
	s_delay_alu instid0(VALU_DEP_2) | instskip(NEXT) | instid1(VALU_DEP_1)
	v_dual_cndmask_b32 v7, v7, v9 :: v_dual_cndmask_b32 v4, v4, v8
	v_cmp_le_u32_e32 vcc_lo, s18, v7
	s_delay_alu instid0(VALU_DEP_2) | instskip(SKIP_1) | instid1(VALU_DEP_1)
	v_add_nc_u32_e32 v8, 1, v4
	s_wait_alu 0xfffd
	v_dual_cndmask_b32 v7, v4, v8 :: v_dual_mov_b32 v8, v3
.LBB0_6:                                ;   in Loop: Header=BB0_2 Depth=1
	s_wait_alu 0xfffe
	s_or_b32 exec_lo, exec_lo, s2
	s_load_b64 s[20:21], s[12:13], 0x0
	s_delay_alu instid0(VALU_DEP_1)
	v_mul_lo_u32 v4, v8, s18
	v_mul_lo_u32 v11, v7, s19
	v_mad_co_u64_u32 v[9:10], null, v7, s18, 0
	s_add_nc_u64 s[14:15], s[14:15], 1
	s_add_nc_u64 s[12:13], s[12:13], 8
	s_wait_alu 0xfffe
	v_cmp_ge_u64_e64 s2, s[14:15], s[6:7]
	s_add_nc_u64 s[16:17], s[16:17], 8
	s_delay_alu instid0(VALU_DEP_2) | instskip(NEXT) | instid1(VALU_DEP_3)
	v_add3_u32 v4, v10, v11, v4
	v_sub_co_u32 v5, vcc_lo, v5, v9
	s_wait_alu 0xfffd
	s_delay_alu instid0(VALU_DEP_2) | instskip(SKIP_3) | instid1(VALU_DEP_2)
	v_sub_co_ci_u32_e32 v4, vcc_lo, v6, v4, vcc_lo
	s_and_b32 vcc_lo, exec_lo, s2
	s_wait_kmcnt 0x0
	v_mul_lo_u32 v6, s21, v5
	v_mul_lo_u32 v4, s20, v4
	v_mad_co_u64_u32 v[1:2], null, s20, v5, v[1:2]
	s_delay_alu instid0(VALU_DEP_1)
	v_add3_u32 v2, v6, v2, v4
	s_wait_alu 0xfffe
	s_cbranch_vccnz .LBB0_9
; %bb.7:                                ;   in Loop: Header=BB0_2 Depth=1
	v_dual_mov_b32 v5, v7 :: v_dual_mov_b32 v6, v8
	s_branch .LBB0_2
.LBB0_8:
	v_dual_mov_b32 v8, v6 :: v_dual_mov_b32 v7, v5
.LBB0_9:
	s_lshl_b64 s[2:3], s[6:7], 3
	v_mul_hi_u32 v5, 0x4444445, v0
	s_wait_alu 0xfffe
	s_add_nc_u64 s[2:3], s[10:11], s[2:3]
                                        ; implicit-def: $vgpr58
                                        ; implicit-def: $vgpr18
                                        ; implicit-def: $vgpr19
                                        ; implicit-def: $vgpr57
                                        ; implicit-def: $vgpr17
                                        ; implicit-def: $vgpr13
                                        ; implicit-def: $vgpr56
                                        ; implicit-def: $vgpr16
                                        ; implicit-def: $vgpr11
                                        ; implicit-def: $vgpr12
                                        ; implicit-def: $vgpr55
                                        ; implicit-def: $vgpr14
                                        ; implicit-def: $vgpr15
                                        ; implicit-def: $vgpr10
                                        ; implicit-def: $vgpr52
                                        ; implicit-def: $vgpr53
                                        ; implicit-def: $vgpr83
                                        ; implicit-def: $vgpr33
                                        ; implicit-def: $vgpr23
                                        ; implicit-def: $vgpr29
                                        ; implicit-def: $vgpr82
                                        ; implicit-def: $vgpr34
                                        ; implicit-def: $vgpr21
                                        ; implicit-def: $vgpr30
                                        ; implicit-def: $vgpr84
                                        ; implicit-def: $vgpr35
                                        ; implicit-def: $vgpr20
                                        ; implicit-def: $vgpr31
                                        ; implicit-def: $vgpr81
                                        ; implicit-def: $vgpr36
                                        ; implicit-def: $vgpr22
                                        ; implicit-def: $vgpr32
                                        ; implicit-def: $vgpr9
                                        ; implicit-def: $vgpr68
                                        ; implicit-def: $vgpr41
                                        ; implicit-def: $vgpr86
                                        ; implicit-def: $vgpr46
                                        ; implicit-def: $vgpr27
                                        ; implicit-def: $vgpr43
                                        ; implicit-def: $vgpr85
                                        ; implicit-def: $vgpr47
                                        ; implicit-def: $vgpr25
                                        ; implicit-def: $vgpr45
                                        ; implicit-def: $vgpr79
                                        ; implicit-def: $vgpr48
                                        ; implicit-def: $vgpr26
                                        ; implicit-def: $vgpr50
                                        ; implicit-def: $vgpr80
                                        ; implicit-def: $vgpr49
                                        ; implicit-def: $vgpr28
                                        ; implicit-def: $vgpr51
                                        ; implicit-def: $vgpr24
                                        ; implicit-def: $vgpr38
                                        ; implicit-def: $vgpr69
                                        ; implicit-def: $vgpr59
                                        ; implicit-def: $vgpr73
                                        ; implicit-def: $vgpr62
                                        ; implicit-def: $vgpr39
                                        ; implicit-def: $vgpr60
                                        ; implicit-def: $vgpr72
                                        ; implicit-def: $vgpr63
                                        ; implicit-def: $vgpr42
                                        ; implicit-def: $vgpr61
                                        ; implicit-def: $vgpr71
                                        ; implicit-def: $vgpr64
                                        ; implicit-def: $vgpr40
                                        ; implicit-def: $vgpr66
                                        ; implicit-def: $vgpr74
                                        ; implicit-def: $vgpr65
                                        ; implicit-def: $vgpr44
                                        ; implicit-def: $vgpr67
                                        ; implicit-def: $vgpr37
                                        ; implicit-def: $vgpr54
                                        ; implicit-def: $vgpr70
	s_load_b64 s[2:3], s[2:3], 0x0
	s_load_b64 s[0:1], s[0:1], 0x20
	s_wait_kmcnt 0x0
	v_mul_lo_u32 v3, s2, v8
	v_mul_lo_u32 v4, s3, v7
	v_mad_co_u64_u32 v[1:2], null, s2, v7, v[1:2]
	v_cmp_gt_u64_e32 vcc_lo, s[0:1], v[7:8]
                                        ; implicit-def: $vgpr7
                                        ; implicit-def: $vgpr8
	s_delay_alu instid0(VALU_DEP_2) | instskip(SKIP_1) | instid1(VALU_DEP_2)
	v_add3_u32 v2, v4, v2, v3
	v_mul_u32_u24_e32 v3, 60, v5
	v_lshlrev_b64_e32 v[4:5], 2, v[1:2]
	s_delay_alu instid0(VALU_DEP_2)
	v_sub_nc_u32_e32 v6, v0, v3
                                        ; implicit-def: $vgpr3
                                        ; implicit-def: $vgpr2
                                        ; implicit-def: $vgpr1
                                        ; implicit-def: $vgpr0
	s_and_saveexec_b32 s1, vcc_lo
	s_cbranch_execz .LBB0_13
; %bb.10:
	v_mov_b32_e32 v7, 0
	s_delay_alu instid0(VALU_DEP_3) | instskip(SKIP_2) | instid1(VALU_DEP_3)
	v_add_co_u32 v2, s0, s8, v4
	s_wait_alu 0xf1ff
	v_add_co_ci_u32_e64 v3, s0, s9, v5, s0
	v_lshlrev_b64_e32 v[0:1], 2, v[6:7]
                                        ; implicit-def: $vgpr53
                                        ; implicit-def: $vgpr52
                                        ; implicit-def: $vgpr10
                                        ; implicit-def: $vgpr15
                                        ; implicit-def: $vgpr14
                                        ; implicit-def: $vgpr55
                                        ; implicit-def: $vgpr12
                                        ; implicit-def: $vgpr11
                                        ; implicit-def: $vgpr16
                                        ; implicit-def: $vgpr56
                                        ; implicit-def: $vgpr8
                                        ; implicit-def: $vgpr13
                                        ; implicit-def: $vgpr17
                                        ; implicit-def: $vgpr57
                                        ; implicit-def: $vgpr7
                                        ; implicit-def: $vgpr19
                                        ; implicit-def: $vgpr18
                                        ; implicit-def: $vgpr58
	s_delay_alu instid0(VALU_DEP_1) | instskip(SKIP_1) | instid1(VALU_DEP_2)
	v_add_co_u32 v0, s0, v2, v0
	s_wait_alu 0xf1ff
	v_add_co_ci_u32_e64 v1, s0, v3, v1, s0
	v_cmp_gt_u32_e64 s0, 36, v6
                                        ; implicit-def: $vgpr2
                                        ; implicit-def: $vgpr3
	s_clause 0x1d
	global_load_b32 v70, v[0:1], off
	global_load_b32 v69, v[0:1], off offset:240
	global_load_b32 v24, v[0:1], off offset:1104
	;; [unrolled: 1-line block ×29, first 2 shown]
	s_and_saveexec_b32 s2, s0
	s_cbranch_execz .LBB0_12
; %bb.11:
	s_clause 0x9
	global_load_b32 v53, v[0:1], off offset:720
	global_load_b32 v52, v[0:1], off offset:1584
	;; [unrolled: 1-line block ×10, first 2 shown]
	s_wait_loadcnt 0x9
	v_lshrrev_b32_e32 v2, 16, v53
	s_wait_loadcnt 0x8
	v_lshrrev_b32_e32 v10, 16, v52
	;; [unrolled: 2-line block ×10, first 2 shown]
.LBB0_12:
	s_wait_alu 0xfffe
	s_or_b32 exec_lo, exec_lo, s2
	s_wait_loadcnt 0x1d
	v_lshrrev_b32_e32 v54, 16, v70
	s_wait_loadcnt 0x11
	v_lshrrev_b32_e32 v67, 16, v37
	v_lshrrev_b32_e32 v65, 16, v44
	s_wait_loadcnt 0xb
	v_lshrrev_b32_e32 v66, 16, v74
	v_lshrrev_b32_e32 v64, 16, v40
	v_lshrrev_b32_e32 v61, 16, v71
	s_wait_loadcnt 0x5
	v_lshrrev_b32_e32 v63, 16, v42
	;; [unrolled: 4-line block ×3, first 2 shown]
	v_lshrrev_b32_e32 v38, 16, v69
	v_lshrrev_b32_e32 v51, 16, v24
	;; [unrolled: 1-line block ×18, first 2 shown]
	s_wait_loadcnt 0x0
	v_lshrrev_b32_e32 v33, 16, v23
	v_lshrrev_b32_e32 v1, 16, v83
.LBB0_13:
	s_wait_alu 0xfffe
	s_or_b32 exec_lo, exec_lo, s1
	v_add_f16_e32 v75, v25, v26
	v_sub_f16_e32 v91, v49, v46
	v_sub_f16_e32 v94, v48, v47
	v_sub_f16_e32 v76, v27, v25
	v_add_f16_e32 v77, v27, v28
	v_fma_f16 v90, -0.5, v75, v69
	v_sub_f16_e32 v75, v28, v26
	v_add_f16_e32 v88, v80, v24
	v_add_f16_e32 v89, v85, v79
	;; [unrolled: 1-line block ×3, first 2 shown]
	v_fmamk_f16 v95, v91, 0xbb9c, v90
	v_fmac_f16_e32 v90, 0x3b9c, v91
	v_sub_f16_e32 v78, v26, v28
	v_add_f16_e32 v76, v76, v75
	v_sub_f16_e32 v97, v50, v41
	v_fmac_f16_e32 v95, 0xb8b4, v94
	v_fmac_f16_e32 v90, 0x38b4, v94
	v_fma_f16 v75, -0.5, v89, v24
	v_fmac_f16_e32 v69, -0.5, v77
	v_add_f16_e32 v77, v79, v88
	v_sub_f16_e32 v88, v80, v79
	v_sub_f16_e32 v89, v86, v85
	;; [unrolled: 1-line block ×3, first 2 shown]
	v_add_f16_e32 v93, v43, v45
	v_fmac_f16_e32 v95, 0x34f2, v76
	v_fmac_f16_e32 v90, 0x34f2, v76
	v_fmamk_f16 v76, v97, 0xbb9c, v75
	v_sub_f16_e32 v98, v45, v43
	v_add_f16_e32 v96, v85, v77
	v_add_f16_e32 v88, v89, v88
	v_fmac_f16_e32 v75, 0x3b9c, v97
	v_fma_f16 v77, -0.5, v93, v51
	v_sub_f16_e32 v101, v80, v86
	v_add_f16_e32 v100, v92, v78
	v_sub_f16_e32 v103, v79, v85
	v_sub_f16_e32 v89, v50, v45
	;; [unrolled: 1-line block ×3, first 2 shown]
	v_add_f16_e32 v93, v86, v80
	v_sub_f16_e32 v79, v79, v80
	v_sub_f16_e32 v80, v85, v86
	v_fmac_f16_e32 v76, 0xb8b4, v98
	v_add_f16_e32 v99, v86, v96
	v_fmac_f16_e32 v75, 0x38b4, v98
	v_fmamk_f16 v78, v101, 0x3b9c, v77
	v_add_f16_e32 v85, v92, v89
	v_fmac_f16_e32 v77, 0xbb9c, v101
	v_add_f16_e32 v102, v80, v79
	v_add_f16_e32 v79, v21, v20
	;; [unrolled: 1-line block ×3, first 2 shown]
	v_sub_f16_e32 v86, v45, v50
	v_sub_f16_e32 v92, v43, v41
	v_fmac_f16_e32 v76, 0x34f2, v88
	v_fmac_f16_e32 v78, 0x38b4, v103
	;; [unrolled: 1-line block ×4, first 2 shown]
	v_add_f16_e32 v88, v22, v68
	v_fma_f16 v104, -0.5, v79, v68
	v_fmac_f16_e32 v68, -0.5, v80
	v_sub_f16_e32 v79, v20, v22
	v_sub_f16_e32 v80, v21, v23
	v_add_f16_e32 v105, v92, v86
	v_add_f16_e32 v86, v81, v9
	v_fmac_f16_e32 v24, -0.5, v93
	v_fmac_f16_e32 v78, 0x34f2, v85
	v_sub_f16_e32 v89, v35, v34
	v_sub_f16_e32 v93, v22, v20
	v_add_f16_e32 v96, v80, v79
	v_sub_f16_e32 v79, v23, v21
	v_fmac_f16_e32 v77, 0x34f2, v85
	v_add_f16_e32 v80, v82, v84
	v_add_f16_e32 v85, v83, v81
	;; [unrolled: 1-line block ×3, first 2 shown]
	v_sub_f16_e32 v106, v36, v33
	v_fmamk_f16 v107, v89, 0x3b9c, v68
	v_fmac_f16_e32 v68, 0xbb9c, v89
	v_add_f16_e32 v108, v79, v93
	v_fma_f16 v79, -0.5, v80, v9
	v_fmac_f16_e32 v9, -0.5, v85
	v_sub_f16_e32 v109, v30, v29
	v_sub_f16_e32 v85, v81, v84
	;; [unrolled: 1-line block ×3, first 2 shown]
	v_add_f16_e32 v86, v82, v86
	v_fmac_f16_e32 v107, 0xb8b4, v106
	v_fmac_f16_e32 v68, 0x38b4, v106
	v_sub_f16_e32 v92, v84, v81
	v_sub_f16_e32 v93, v82, v83
	v_fmamk_f16 v80, v109, 0x3b9c, v9
	v_sub_f16_e32 v110, v31, v1
	v_fmac_f16_e32 v9, 0xbb9c, v109
	v_add_f16_e32 v111, v111, v85
	v_add_f16_e32 v85, v1, v31
	v_add_f16_e32 v112, v83, v86
	v_sub_f16_e32 v86, v84, v82
	v_add_f16_e32 v84, v41, v50
	v_fmac_f16_e32 v107, 0x34f2, v96
	v_add_f16_e32 v92, v93, v92
	v_fmac_f16_e32 v80, 0xb8b4, v110
	v_fmac_f16_e32 v9, 0x38b4, v110
	;; [unrolled: 1-line block ×3, first 2 shown]
	v_fma_f16 v82, -0.5, v85, v32
	v_sub_f16_e32 v96, v81, v83
	v_fma_f16 v83, -0.5, v84, v51
	v_fmac_f16_e32 v80, 0x34f2, v92
	v_fmac_f16_e32 v9, 0x34f2, v92
	v_sub_f16_e32 v85, v30, v31
	v_sub_f16_e32 v92, v29, v1
	v_fmamk_f16 v81, v86, 0xbb9c, v82
	v_fmac_f16_e32 v82, 0x3b9c, v86
	v_fmamk_f16 v84, v103, 0xbb9c, v83
	v_fmamk_f16 v114, v94, 0x3b9c, v69
	v_add_f16_e32 v92, v92, v85
	v_fmac_f16_e32 v81, 0x38b4, v96
	v_fmac_f16_e32 v82, 0xb8b4, v96
	v_fmamk_f16 v85, v98, 0x3b9c, v24
	v_fmac_f16_e32 v84, 0x38b4, v101
	v_sub_f16_e32 v93, v31, v30
	v_fmac_f16_e32 v81, 0x34f2, v92
	v_fmac_f16_e32 v82, 0x34f2, v92
	;; [unrolled: 1-line block ×4, first 2 shown]
	v_add_f16_e32 v92, v29, v30
	v_sub_f16_e32 v113, v1, v29
	v_mul_f16_e32 v115, 0xb8b4, v78
	v_fmac_f16_e32 v114, 0xb8b4, v91
	v_add_f16_e32 v87, v26, v87
	v_fmac_f16_e32 v85, 0x34f2, v102
	v_mul_f16_e32 v116, 0xbb9c, v84
	v_fma_f16 v92, -0.5, v92, v32
	v_fmac_f16_e32 v115, 0x3a79, v76
	v_add_f16_e32 v87, v25, v87
	v_fmac_f16_e32 v114, 0x34f2, v100
	v_fmac_f16_e32 v116, 0x34f2, v85
	v_add_f16_e32 v113, v113, v93
	v_fmamk_f16 v93, v96, 0x3b9c, v92
	v_sub_f16_e32 v118, v95, v115
	v_add_f16_e32 v121, v27, v87
	v_sub_f16_e32 v87, v114, v116
	v_fmac_f16_e32 v92, 0xbb9c, v96
	v_fmamk_f16 v96, v110, 0xbb9c, v79
	v_fmac_f16_e32 v93, 0x38b4, v86
	v_fmac_f16_e32 v79, 0x3b9c, v110
	v_pack_b32_f16 v118, v118, v87
	v_add_f16_e32 v87, v20, v88
	v_fmamk_f16 v88, v106, 0xbb9c, v104
	v_fmac_f16_e32 v96, 0xb8b4, v109
	v_fmac_f16_e32 v93, 0x34f2, v113
	;; [unrolled: 1-line block ×3, first 2 shown]
	v_mul_f16_e32 v117, 0xb8b4, v77
	v_mul_f16_e32 v119, 0xbb9c, v81
	;; [unrolled: 1-line block ×3, first 2 shown]
	v_add_f16_e32 v87, v21, v87
	v_fmac_f16_e32 v88, 0xb8b4, v89
	v_fmac_f16_e32 v96, 0x34f2, v111
	;; [unrolled: 1-line block ×5, first 2 shown]
	v_mul_f16_e32 v106, 0xb8b4, v93
	v_fmac_f16_e32 v117, 0xba79, v75
	v_fmac_f16_e32 v119, 0x34f2, v80
	;; [unrolled: 1-line block ×3, first 2 shown]
	v_add_f16_e32 v87, v23, v87
	v_fmac_f16_e32 v88, 0x34f2, v108
	v_mul_u32_u24_e32 v86, 10, v6
	v_fmac_f16_e32 v104, 0x38b4, v89
	v_fmac_f16_e32 v79, 0x34f2, v111
	v_mul_f16_e32 v113, 0xb8b4, v92
	v_fmac_f16_e32 v106, 0x3a79, v96
	v_add_f16_e32 v122, v90, v117
	v_sub_f16_e32 v123, v121, v99
	v_add_f16_e32 v124, v107, v119
	v_add_f16_e32 v125, v68, v120
	v_lshl_add_u32 v86, v86, 1, 0
	v_add_f16_e32 v89, v112, v87
	v_fmac_f16_e32 v104, 0x34f2, v108
	v_fmac_f16_e32 v113, 0xba79, v79
	v_add_f16_e32 v108, v88, v106
	v_pack_b32_f16 v122, v122, v123
	v_pack_b32_f16 v123, v124, v125
	v_sub_f16_e32 v106, v88, v106
	v_sub_f16_e32 v107, v107, v119
	;; [unrolled: 1-line block ×3, first 2 shown]
	v_add_f16_e32 v110, v104, v113
	v_pack_b32_f16 v108, v89, v108
	v_add_nc_u32_e32 v87, 0x960, v86
	v_pack_b32_f16 v106, v106, v107
	v_add_nc_u32_e32 v89, 0x968, v86
	v_pack_b32_f16 v107, v110, v109
	v_sub_f16_e32 v109, v44, v40
	ds_store_2addr_b32 v87, v108, v123 offset1:1
	v_add_f16_e32 v108, v42, v40
	v_sub_f16_e32 v110, v39, v42
	ds_store_2addr_b32 v89, v107, v106 offset1:1
	v_add_f16_e32 v106, v39, v44
	v_sub_f16_e32 v107, v65, v62
	v_fma_f16 v119, -0.5, v108, v70
	v_add_f16_e32 v123, v44, v70
	v_add_f16_e32 v108, v110, v109
	v_fmac_f16_e32 v70, -0.5, v106
	v_sub_f16_e32 v106, v64, v63
	v_fmamk_f16 v124, v107, 0xbb9c, v119
	v_fmac_f16_e32 v119, 0x3b9c, v107
	v_sub_f16_e32 v109, v40, v44
	v_sub_f16_e32 v110, v42, v39
	v_fmamk_f16 v125, v106, 0x3b9c, v70
	v_fmac_f16_e32 v70, 0xbb9c, v106
	v_fmac_f16_e32 v124, 0xb8b4, v106
	v_add_f16_e32 v111, v72, v71
	v_fmac_f16_e32 v119, 0x38b4, v106
	v_add_f16_e32 v109, v110, v109
	v_fmac_f16_e32 v125, 0xb8b4, v107
	v_fmac_f16_e32 v70, 0x38b4, v107
	v_fma_f16 v106, -0.5, v111, v37
	v_sub_f16_e32 v110, v66, v59
	v_fmac_f16_e32 v124, 0x34f2, v108
	v_fmac_f16_e32 v119, 0x34f2, v108
	v_sub_f16_e32 v108, v74, v71
	v_sub_f16_e32 v111, v73, v72
	v_add_f16_e32 v126, v73, v74
	v_fmamk_f16 v107, v110, 0xbb9c, v106
	v_sub_f16_e32 v112, v61, v60
	v_fmac_f16_e32 v125, 0x34f2, v109
	v_add_f16_e32 v111, v111, v108
	v_fmac_f16_e32 v106, 0x3b9c, v110
	v_fmac_f16_e32 v70, 0x34f2, v109
	v_add_f16_e32 v108, v74, v37
	v_fmac_f16_e32 v37, -0.5, v126
	v_sub_f16_e32 v109, v71, v74
	v_sub_f16_e32 v126, v72, v73
	v_fmac_f16_e32 v107, 0xb8b4, v112
	v_fmac_f16_e32 v106, 0x38b4, v112
	v_add_f16_e32 v127, v71, v108
	v_fmamk_f16 v108, v112, 0x3b9c, v37
	v_fmac_f16_e32 v37, 0xbb9c, v112
	v_add_f16_e32 v126, v126, v109
	v_add_f16_e32 v109, v60, v61
	v_fmac_f16_e32 v107, 0x34f2, v111
	v_fmac_f16_e32 v106, 0x34f2, v111
	v_add_f16_e32 v111, v72, v127
	v_fmac_f16_e32 v108, 0xb8b4, v110
	v_fmac_f16_e32 v37, 0x38b4, v110
	v_sub_f16_e32 v74, v74, v73
	v_sub_f16_e32 v110, v66, v61
	;; [unrolled: 1-line block ×3, first 2 shown]
	v_add_f16_e32 v127, v59, v66
	v_fma_f16 v109, -0.5, v109, v67
	v_add_f16_e32 v73, v73, v111
	v_sub_f16_e32 v71, v71, v72
	v_add_f16_e32 v72, v112, v110
	v_fma_f16 v111, -0.5, v127, v67
	v_fmamk_f16 v110, v74, 0x3b9c, v109
	v_fmac_f16_e32 v109, 0xbb9c, v74
	v_sub_f16_e32 v127, v61, v66
	v_sub_f16_e64 v128, v60, v59
	v_fmamk_f16 v112, v71, 0xbb9c, v111
	v_fmac_f16_e32 v111, 0x3b9c, v71
	v_fmac_f16_e32 v110, 0x38b4, v71
	;; [unrolled: 1-line block ×3, first 2 shown]
	v_add_f16_e64 v71, v128, v127
	v_fmac_f16_e32 v112, 0x38b4, v74
	v_fmac_f16_e32 v111, 0xb8b4, v74
	v_add_f16_e32 v74, v40, v123
	v_fmac_f16_e32 v110, 0x34f2, v72
	v_fmac_f16_e32 v109, 0x34f2, v72
	;; [unrolled: 1-line block ×4, first 2 shown]
	v_add_f16_e32 v71, v42, v74
	v_mul_f16_e32 v74, 0xb8b4, v110
	v_fmac_f16_e32 v83, 0x3b9c, v103
	v_mul_f16_e32 v103, 0xb8b4, v109
	v_fmac_f16_e32 v24, 0xbb9c, v98
	v_add_f16_e32 v71, v39, v71
	v_fmac_f16_e32 v74, 0x3a79, v107
	v_fmac_f16_e32 v83, 0xb8b4, v101
	;; [unrolled: 1-line block ×4, first 2 shown]
	v_mul_f16_e32 v126, 0xbb9c, v111
	v_add_f16_e32 v72, v73, v71
	v_sub_f16_e32 v71, v71, v73
	v_add_f16_e32 v73, v124, v74
	v_fmac_f16_e32 v103, 0xba79, v106
	v_fmac_f16_e32 v69, 0xbb9c, v94
	v_fmac_f16_e32 v24, 0x38b4, v97
	v_fmac_f16_e32 v83, 0x34f2, v105
	v_mul_f16_e32 v123, 0xbb9c, v112
	v_fmac_f16_e32 v126, 0xb4f2, v37
	v_pack_b32_f16 v98, v72, v73
	v_add_f16_e32 v72, v119, v103
	v_fmac_f16_e32 v69, 0x38b4, v91
	v_fmac_f16_e32 v24, 0x34f2, v102
	v_mul_f16_e32 v73, 0xbb9c, v83
	v_fmac_f16_e32 v123, 0x34f2, v108
	v_add_f16_e64 v128, v70, v126
	v_pack_b32_f16 v97, v72, v71
	v_sub_f16_e32 v71, v70, v126
	v_fmac_f16_e32 v69, 0x34f2, v100
	v_fmac_f16_e32 v73, 0xb4f2, v24
	v_add_f16_e32 v70, v57, v56
	v_add_f16_e32 v127, v125, v123
	v_sub_f16_e32 v74, v124, v74
	v_sub_f16_e32 v123, v125, v123
	v_add_f16_e32 v100, v69, v73
	v_sub_f16_e32 v101, v69, v73
	v_fma_f16 v69, -0.5, v70, v52
	v_sub_f16_e32 v73, v12, v3
	v_pack_b32_f16 v94, v74, v123
	v_sub_f16_e32 v72, v119, v103
	v_sub_f16_e32 v102, v90, v117
	;; [unrolled: 1-line block ×5, first 2 shown]
	v_fmamk_f16 v70, v73, 0xbb9c, v69
	v_sub_f16_e32 v90, v8, v7
	v_add_f16_e32 v105, v58, v55
	v_fmac_f16_e32 v69, 0x3b9c, v73
	v_sub_f16_e32 v104, v104, v113
	v_pack_b32_f16 v113, v71, v72
	v_add_f16_e32 v72, v74, v68
	v_fmac_f16_e32 v70, 0xb8b4, v90
	v_fma_f16 v68, -0.5, v105, v52
	v_fmac_f16_e32 v69, 0x38b4, v90
	v_sub_f16_e32 v74, v56, v55
	v_sub_f16_e32 v105, v57, v58
	v_add_f16_e32 v91, v99, v121
	v_add_f16_e32 v99, v114, v116
	v_fmac_f16_e32 v70, 0x34f2, v72
	v_fmamk_f16 v71, v90, 0x3b9c, v68
	v_fmac_f16_e32 v69, 0x34f2, v72
	v_fmac_f16_e32 v68, 0xbb9c, v90
	v_add_f16_e32 v105, v105, v74
	v_add_f16_e32 v72, v7, v8
	v_sub_f16_e32 v74, v12, v8
	v_sub_f16_e32 v90, v3, v7
	v_add_f16_e32 v114, v3, v12
	v_add_f16_e32 v95, v95, v115
	v_fma_f16 v72, -0.5, v72, v10
	v_sub_f16_e32 v115, v55, v58
	v_add_f16_e32 v116, v90, v74
	v_fma_f16 v74, -0.5, v114, v10
	v_sub_f16_e32 v114, v56, v57
	v_fmac_f16_e32 v71, 0xb8b4, v73
	v_fmac_f16_e32 v68, 0x38b4, v73
	v_fmamk_f16 v73, v115, 0x3b9c, v72
	v_fmac_f16_e32 v72, 0xbb9c, v115
	v_sub_f16_e32 v117, v8, v12
	v_sub_f16_e32 v119, v7, v3
	v_fmamk_f16 v90, v114, 0xbb9c, v74
	v_fmac_f16_e32 v74, 0x3b9c, v114
	v_fmac_f16_e32 v73, 0x38b4, v114
	;; [unrolled: 1-line block ×3, first 2 shown]
	v_add_f16_e32 v114, v119, v117
	v_fmac_f16_e32 v90, 0x38b4, v115
	v_fmac_f16_e32 v74, 0xb8b4, v115
	v_add_nc_u32_e32 v88, 0x4b8, v86
	v_pack_b32_f16 v124, v127, v128
	v_fmac_f16_e32 v71, 0x34f2, v105
	v_fmac_f16_e32 v68, 0x34f2, v105
	;; [unrolled: 1-line block ×6, first 2 shown]
	v_pack_b32_f16 v95, v91, v95
	v_add_nc_u32_e32 v91, 0x4b0, v86
	v_cmp_gt_u32_e64 s0, 36, v6
	v_pack_b32_f16 v99, v99, v100
	v_pack_b32_f16 v100, v101, v102
	;; [unrolled: 1-line block ×3, first 2 shown]
	ds_store_2addr_b32 v86, v98, v124 offset1:1
	ds_store_2addr_b32 v86, v97, v94 offset0:2 offset1:3
	ds_store_b32 v86, v113 offset:16
	ds_store_b32 v86, v100 offset:1216
	ds_store_2addr_b32 v88, v122, v118 offset1:1
	ds_store_2addr_b32 v91, v95, v99 offset1:1
	ds_store_b32 v86, v101 offset:2416
	s_and_saveexec_b32 s1, s0
	s_cbranch_execz .LBB0_15
; %bb.14:
	v_add_f16_e32 v94, v13, v11
	v_add_f16_e32 v95, v19, v15
	v_sub_f16_e32 v98, v14, v18
	v_sub_f16_e32 v99, v16, v17
	v_add_f16_e32 v52, v55, v52
	v_fma_f16 v94, -0.5, v94, v53
	v_fma_f16 v95, -0.5, v95, v53
	v_add_f16_e32 v53, v15, v53
	v_sub_f16_e32 v97, v15, v11
	v_sub_f16_e32 v100, v19, v13
	;; [unrolled: 1-line block ×4, first 2 shown]
	v_fmamk_f16 v103, v98, 0x3b9c, v94
	v_fmamk_f16 v104, v99, 0xbb9c, v95
	v_fmac_f16_e32 v95, 0x3b9c, v99
	v_fmac_f16_e32 v94, 0xbb9c, v98
	v_add_f16_e32 v53, v11, v53
	v_add_f16_e32 v52, v56, v52
	v_mul_f16_e32 v105, 0xb8b4, v72
	v_add_f16_e32 v97, v100, v97
	v_add_f16_e32 v100, v102, v101
	v_fmac_f16_e32 v103, 0x38b4, v99
	v_fmac_f16_e32 v95, 0xb8b4, v98
	v_mul_f16_e32 v55, 0xbb9c, v90
	v_fmac_f16_e32 v94, 0xb8b4, v99
	v_mul_f16_e32 v56, 0xb8b4, v73
	v_add_f16_e32 v53, v13, v53
	v_add_f16_e32 v52, v57, v52
	v_fmac_f16_e32 v104, 0x38b4, v98
	v_mul_f16_e32 v101, 0xbb9c, v74
	v_fmac_f16_e32 v105, 0xba79, v69
	v_fmac_f16_e32 v103, 0x34f2, v97
	;; [unrolled: 1-line block ×6, first 2 shown]
	v_add_f16_e32 v53, v19, v53
	v_add_f16_e32 v52, v58, v52
	v_fmac_f16_e32 v104, 0x34f2, v100
	v_fmac_f16_e32 v101, 0xb4f2, v68
	v_sub_f16_e32 v97, v95, v55
	v_sub_f16_e32 v98, v94, v56
	;; [unrolled: 1-line block ×3, first 2 shown]
	v_add_f16_e32 v55, v95, v55
	v_add_f16_e32 v95, v103, v105
	;; [unrolled: 1-line block ×5, first 2 shown]
	v_sub_f16_e32 v57, v103, v105
	v_sub_f16_e32 v58, v104, v101
	v_add_nc_u32_e32 v94, 0xe18, v86
	v_pack_b32_f16 v97, v98, v97
	v_pack_b32_f16 v95, v95, v99
	v_add_nc_u32_e32 v53, 0xe10, v86
	v_pack_b32_f16 v55, v55, v100
	v_pack_b32_f16 v52, v52, v56
	;; [unrolled: 1-line block ×3, first 2 shown]
	ds_store_2addr_b32 v94, v95, v97 offset1:1
	ds_store_2addr_b32 v53, v52, v55 offset1:1
	ds_store_b32 v86, v56 offset:3616
.LBB0_15:
	s_wait_alu 0xfffe
	s_or_b32 exec_lo, exec_lo, s1
	v_add_f16_e32 v52, v65, v54
	v_add_f16_e32 v53, v63, v64
	;; [unrolled: 1-line block ×3, first 2 shown]
	v_sub_f16_e32 v39, v44, v39
	v_sub_f16_e32 v44, v65, v64
	v_add_f16_e32 v52, v64, v52
	v_fma_f16 v53, -0.5, v53, v54
	v_sub_f16_e32 v55, v62, v63
	v_sub_f16_e32 v40, v40, v42
	v_fmac_f16_e32 v54, -0.5, v56
	v_add_f16_e32 v42, v63, v52
	v_fmamk_f16 v52, v39, 0x3b9c, v53
	v_add_f16_e32 v44, v55, v44
	v_fmac_f16_e32 v53, 0xbb9c, v39
	v_add_f16_e32 v55, v66, v67
	v_fmamk_f16 v56, v40, 0xbb9c, v54
	v_sub_f16_e32 v57, v64, v65
	v_sub_f16_e32 v58, v63, v62
	v_fmac_f16_e32 v54, 0x3b9c, v40
	v_fmac_f16_e32 v52, 0x38b4, v40
	;; [unrolled: 1-line block ×3, first 2 shown]
	v_add_f16_e32 v55, v61, v55
	v_fmac_f16_e32 v56, 0x38b4, v39
	v_add_f16_e32 v40, v58, v57
	v_fmac_f16_e32 v54, 0xb8b4, v39
	v_mul_f16_e32 v39, 0x38b4, v107
	v_add_f16_e32 v55, v60, v55
	v_add_f16_e32 v42, v62, v42
	v_fmac_f16_e32 v56, 0x34f2, v40
	v_fmac_f16_e32 v54, 0x34f2, v40
	v_mul_f16_e32 v40, 0x34f2, v111
	v_fmac_f16_e32 v52, 0x34f2, v44
	v_fmac_f16_e32 v53, 0x34f2, v44
	v_add_f16_e32 v44, v59, v55
	v_fmac_f16_e32 v39, 0x3a79, v110
	v_fma_f16 v37, v37, 0x3b9c, -v40
	v_add_f16_e32 v40, v47, v48
	v_add_f16_e32 v58, v49, v38
	;; [unrolled: 1-line block ×4, first 2 shown]
	v_sub_f16_e32 v27, v28, v27
	v_fma_f16 v40, -0.5, v40, v38
	v_sub_f16_e32 v67, v42, v44
	v_sub_f16_e32 v94, v52, v39
	v_add_f16_e32 v39, v48, v58
	v_sub_f16_e32 v25, v26, v25
	v_sub_f16_e32 v26, v49, v48
	v_sub_f16_e32 v44, v46, v47
	v_add_f16_e32 v52, v46, v49
	v_fmamk_f16 v42, v27, 0x3b9c, v40
	v_add_f16_e32 v39, v47, v39
	v_fmac_f16_e32 v40, 0xbb9c, v27
	v_add_f16_e32 v26, v44, v26
	v_fmac_f16_e32 v38, -0.5, v52
	v_add_f16_e32 v44, v50, v51
	v_add_f16_e32 v66, v54, v37
	v_fmac_f16_e32 v42, 0x38b4, v25
	v_sub_f16_e32 v95, v54, v37
	v_add_f16_e32 v37, v46, v39
	v_fmamk_f16 v39, v25, 0xbb9c, v38
	v_fmac_f16_e32 v38, 0x3b9c, v25
	v_fmac_f16_e32 v40, 0xb8b4, v25
	v_add_f16_e32 v25, v45, v44
	v_sub_f16_e32 v48, v48, v49
	v_sub_f16_e32 v46, v47, v46
	v_fmac_f16_e32 v39, 0x38b4, v27
	v_fmac_f16_e32 v38, 0xb8b4, v27
	v_add_f16_e32 v25, v43, v25
	v_mul_f16_e32 v43, 0x3a79, v77
	v_mul_f16_e32 v27, 0x3b9c, v85
	v_fmac_f16_e32 v42, 0x34f2, v26
	v_add_f16_e32 v44, v46, v48
	v_add_f16_e32 v25, v41, v25
	v_mul_f16_e32 v41, 0x34f2, v83
	v_fmac_f16_e32 v40, 0x34f2, v26
	v_mul_f16_e32 v26, 0x38b4, v76
	v_fmac_f16_e32 v27, 0x34f2, v84
	v_add_f16_e32 v76, v25, v37
	v_fma_f16 v24, v24, 0x3b9c, -v41
	v_fma_f16 v41, v75, 0x38b4, -v43
	v_add_f16_e32 v43, v36, v0
	v_sub_f16_e32 v84, v37, v25
	v_fmac_f16_e32 v39, 0x34f2, v44
	v_fmac_f16_e32 v38, 0x34f2, v44
	v_add_f16_e32 v44, v34, v35
	v_add_f16_e32 v25, v35, v43
	v_sub_f16_e32 v22, v22, v23
	v_sub_f16_e32 v20, v20, v21
	v_fmac_f16_e32 v26, 0x3a79, v78
	v_fma_f16 v37, -0.5, v44, v0
	v_add_f16_e32 v23, v34, v25
	v_add_f16_e32 v25, v33, v36
	;; [unrolled: 1-line block ×3, first 2 shown]
	v_sub_f16_e32 v85, v38, v24
	v_fmamk_f16 v24, v22, 0x3b9c, v37
	v_sub_f16_e32 v21, v36, v35
	v_fmac_f16_e32 v0, -0.5, v25
	v_sub_f16_e32 v38, v33, v34
	v_add_f16_e32 v23, v33, v23
	v_fmac_f16_e32 v37, 0xbb9c, v22
	v_sub_f16_e32 v35, v35, v36
	v_fmamk_f16 v25, v20, 0xbb9c, v0
	v_sub_f16_e32 v33, v34, v33
	v_fmac_f16_e32 v0, 0x3b9c, v20
	v_add_f16_e32 v31, v31, v32
	v_fmac_f16_e32 v24, 0x38b4, v20
	v_fmac_f16_e32 v37, 0xb8b4, v20
	;; [unrolled: 1-line block ×3, first 2 shown]
	v_add_f16_e32 v20, v33, v35
	v_fmac_f16_e32 v0, 0xb8b4, v22
	v_add_f16_e32 v22, v30, v31
	v_add_f16_e32 v21, v38, v21
	v_mul_f16_e32 v55, 0x3b9c, v108
	v_fmac_f16_e32 v25, 0x34f2, v20
	v_fmac_f16_e32 v0, 0x34f2, v20
	v_add_f16_e32 v20, v29, v22
	v_mul_f16_e32 v29, 0x34f2, v82
	v_mul_f16_e32 v57, 0x3a79, v109
	v_fmac_f16_e32 v24, 0x34f2, v21
	v_fmac_f16_e32 v37, 0x34f2, v21
	v_mul_f16_e32 v21, 0x38b4, v96
	v_mul_f16_e32 v22, 0x3b9c, v80
	;; [unrolled: 1-line block ×3, first 2 shown]
	v_fma_f16 v9, v9, 0x3b9c, -v29
	v_fmac_f16_e32 v55, 0x34f2, v112
	v_fma_f16 v57, v106, 0x38b4, -v57
	v_add_f16_e32 v1, v1, v20
	v_fmac_f16_e32 v21, 0x3a79, v93
	v_fmac_f16_e32 v22, 0x34f2, v81
	v_fma_f16 v20, v79, 0x38b4, -v30
	v_add_f16_e32 v79, v0, v9
	v_sub_f16_e32 v92, v0, v9
	v_lshl_add_u32 v9, v6, 1, 0
	v_add_f16_e32 v65, v56, v55
	v_add_f16_e32 v28, v53, v57
	v_sub_f16_e32 v55, v56, v55
	v_sub_f16_e32 v97, v53, v57
	v_add_f16_e32 v77, v42, v26
	v_add_f16_e32 v75, v39, v27
	;; [unrolled: 1-line block ×3, first 2 shown]
	v_sub_f16_e32 v26, v42, v26
	v_sub_f16_e32 v27, v39, v27
	v_sub_f16_e32 v98, v40, v41
	v_add_f16_e32 v29, v1, v23
	v_add_f16_e32 v30, v24, v21
	;; [unrolled: 1-line block ×4, first 2 shown]
	v_sub_f16_e32 v1, v23, v1
	v_sub_f16_e32 v81, v24, v21
	;; [unrolled: 1-line block ×4, first 2 shown]
	global_wb scope:SCOPE_SE
	s_wait_dscnt 0x0
	s_barrier_signal -1
	s_barrier_wait -1
	global_inv scope:SCOPE_SE
	ds_load_u16 v49, v9 offset:840
	ds_load_u16 v33, v9 offset:3720
	;; [unrolled: 1-line block ×5, first 2 shown]
	ds_load_u16 v25, v9
	ds_load_u16 v24, v9 offset:120
	ds_load_u16 v23, v9 offset:240
	;; [unrolled: 1-line block ×30, first 2 shown]
	v_pack_b32_f16 v65, v65, v66
	v_pack_b32_f16 v63, v63, v64
	v_add_nc_u32_e32 v0, 0xb4, v6
	v_pack_b32_f16 v55, v94, v55
	v_pack_b32_f16 v28, v28, v67
	;; [unrolled: 1-line block ×12, first 2 shown]
	global_wb scope:SCOPE_SE
	s_wait_dscnt 0x0
	s_barrier_signal -1
	s_barrier_wait -1
	global_inv scope:SCOPE_SE
	ds_store_2addr_b32 v86, v63, v65 offset1:1
	ds_store_2addr_b32 v86, v28, v55 offset0:2 offset1:3
	ds_store_b32 v86, v64 offset:16
	ds_store_b32 v86, v75 offset:1216
	v_pack_b32_f16 v28, v92, v93
	ds_store_2addr_b32 v88, v27, v26 offset1:1
	ds_store_2addr_b32 v87, v29, v32 offset1:1
	;; [unrolled: 1-line block ×4, first 2 shown]
	ds_store_b32 v86, v28 offset:2416
	s_and_saveexec_b32 s1, s0
	s_cbranch_execz .LBB0_17
; %bb.16:
	v_add_f16_e32 v26, v17, v16
	v_add_f16_e32 v27, v18, v14
	;; [unrolled: 1-line block ×3, first 2 shown]
	v_sub_f16_e32 v15, v15, v19
	v_sub_f16_e32 v11, v11, v13
	v_fma_f16 v26, -0.5, v26, v2
	v_fmac_f16_e32 v2, -0.5, v27
	v_sub_f16_e32 v19, v14, v16
	v_add_f16_e32 v1, v16, v1
	v_sub_f16_e32 v14, v16, v14
	v_fmamk_f16 v13, v15, 0x3b9c, v26
	v_fmac_f16_e32 v26, 0xbb9c, v15
	v_fmamk_f16 v27, v11, 0xbb9c, v2
	v_sub_f16_e32 v16, v17, v18
	v_fmac_f16_e32 v2, 0x3b9c, v11
	v_add_f16_e32 v10, v12, v10
	v_sub_f16_e32 v28, v18, v17
	v_fmac_f16_e32 v13, 0x38b4, v11
	v_fmac_f16_e32 v26, 0xb8b4, v11
	;; [unrolled: 1-line block ×3, first 2 shown]
	v_add_f16_e32 v11, v16, v14
	v_fmac_f16_e32 v2, 0xb8b4, v15
	v_add_f16_e32 v8, v8, v10
	v_add_f16_e32 v1, v17, v1
	;; [unrolled: 1-line block ×3, first 2 shown]
	v_fmac_f16_e32 v27, 0x34f2, v11
	v_fmac_f16_e32 v2, 0x34f2, v11
	v_add_f16_e32 v7, v7, v8
	v_mul_f16_e32 v8, 0x38b4, v70
	v_mul_f16_e32 v10, 0x3b9c, v71
	;; [unrolled: 1-line block ×4, first 2 shown]
	v_add_f16_e32 v1, v18, v1
	v_fmac_f16_e32 v13, 0x34f2, v19
	v_add_f16_e32 v3, v3, v7
	v_fmac_f16_e32 v8, 0x3a79, v73
	v_fmac_f16_e32 v10, 0x34f2, v90
	v_fma_f16 v7, v68, 0x3b9c, -v11
	v_fmac_f16_e32 v26, 0x34f2, v19
	v_fma_f16 v11, v69, 0x38b4, -v12
	v_add_f16_e32 v12, v3, v1
	v_add_f16_e32 v14, v13, v8
	;; [unrolled: 1-line block ×4, first 2 shown]
	v_sub_f16_e32 v1, v1, v3
	v_mul_u32_u24_e32 v3, 10, v0
	v_add_f16_e32 v17, v26, v11
	v_sub_f16_e32 v8, v13, v8
	v_sub_f16_e32 v10, v27, v10
	;; [unrolled: 1-line block ×4, first 2 shown]
	v_lshl_add_u32 v3, v3, 1, 0
	v_pack_b32_f16 v11, v15, v16
	v_pack_b32_f16 v12, v12, v14
	;; [unrolled: 1-line block ×5, first 2 shown]
	ds_store_2addr_b32 v3, v12, v11 offset1:1
	ds_store_2addr_b32 v3, v1, v8 offset0:2 offset1:3
	ds_store_b32 v3, v2 offset:16
.LBB0_17:
	s_wait_alu 0xfffe
	s_or_b32 exec_lo, exec_lo, s1
	v_and_b32_e32 v2, 0xff, v6
	v_and_b32_e32 v1, 0xff, v0
	v_add_nc_u16 v7, v6, 0x78
	global_wb scope:SCOPE_SE
	s_wait_dscnt 0x0
	s_barrier_signal -1
	v_mul_lo_u16 v2, 0xcd, v2
	v_mul_lo_u16 v3, 0xcd, v1
	s_barrier_wait -1
	global_inv scope:SCOPE_SE
	v_mul_lo_u16 v1, 0x89, v1
	v_lshrrev_b16 v16, 11, v2
	v_lshrrev_b16 v12, 11, v3
	v_add_nc_u16 v3, v6, 60
	s_delay_alu instid0(VALU_DEP_4) | instskip(NEXT) | instid1(VALU_DEP_4)
	v_lshrrev_b16 v1, 13, v1
	v_mul_lo_u16 v2, v16, 10
	s_delay_alu instid0(VALU_DEP_4) | instskip(NEXT) | instid1(VALU_DEP_4)
	v_mul_lo_u16 v8, v12, 10
	v_and_b32_e32 v10, 0xff, v3
	v_and_b32_e32 v16, 0xffff, v16
	;; [unrolled: 1-line block ×3, first 2 shown]
	v_sub_nc_u16 v2, v6, v2
	v_sub_nc_u16 v11, v0, v8
	v_and_b32_e32 v8, 0xff, v7
	v_mul_u32_u24_e32 v16, 0x78, v16
	v_mul_u32_u24_e32 v12, 0x78, v12
	v_and_b32_e32 v14, 0xff, v2
	v_mul_lo_u16 v2, 0xcd, v10
	v_and_b32_e32 v13, 0xff, v11
	v_mul_lo_u16 v1, v1, 60
	s_delay_alu instid0(VALU_DEP_4) | instskip(NEXT) | instid1(VALU_DEP_4)
	v_mul_u32_u24_e32 v10, 5, v14
	v_lshrrev_b16 v17, 11, v2
	v_mul_lo_u16 v2, 0xcd, v8
	v_mul_u32_u24_e32 v11, 5, v13
	v_lshlrev_b32_e32 v14, 1, v14
	v_lshlrev_b32_e32 v10, 2, v10
	v_mul_lo_u16 v18, v17, 10
	v_lshrrev_b16 v15, 11, v2
	v_lshlrev_b32_e32 v2, 2, v11
	v_add_nc_u32_e32 v11, 0xf0, v6
	global_load_b128 v[63:66], v10, s[4:5]
	v_sub_nc_u16 v3, v3, v18
	v_mul_lo_u16 v19, v15, 10
	s_clause 0x2
	global_load_b32 v87, v10, s[4:5] offset:16
	global_load_b128 v[67:70], v2, s[4:5]
	global_load_b32 v88, v2, s[4:5] offset:16
	v_add_nc_u32_e32 v10, 0x12c, v6
	v_and_b32_e32 v18, 0xff, v3
	v_sub_nc_u16 v3, v7, v19
	v_and_b32_e32 v17, 0xffff, v17
	v_and_b32_e32 v15, 0xffff, v15
	v_lshlrev_b32_e32 v13, 1, v13
	v_mul_u32_u24_e32 v26, 5, v18
	v_and_b32_e32 v19, 0xff, v3
	v_and_b32_e32 v3, 0xffff, v10
	v_mul_u32_u24_e32 v17, 0x78, v17
	v_lshlrev_b32_e32 v18, 1, v18
	v_lshlrev_b32_e32 v26, 2, v26
	v_mul_u32_u24_e32 v29, 5, v19
	v_add3_u32 v12, 0, v12, v13
	v_mul_lo_u16 v8, 0x89, v8
	v_sub_nc_u16 v0, v0, v1
	s_clause 0x1
	global_load_b128 v[71:74], v26, s[4:5]
	global_load_b32 v89, v26, s[4:5] offset:16
	v_and_b32_e32 v2, 0xffff, v11
	v_lshlrev_b32_e32 v30, 2, v29
	v_lshrrev_b16 v8, 13, v8
	v_and_b32_e32 v0, 0xff, v0
	s_delay_alu instid0(VALU_DEP_4)
	v_mul_u32_u24_e32 v27, 0xcccd, v2
	s_clause 0x1
	global_load_b128 v[75:78], v30, s[4:5]
	global_load_b32 v90, v30, s[4:5] offset:16
	v_mul_lo_u16 v8, v8, 60
	v_mul_u32_u24_e32 v1, 0x8889, v2
	v_lshrrev_b32_e32 v28, 19, v27
	v_mul_u32_u24_e32 v27, 0xcccd, v3
	v_mul_u32_u24_e32 v2, 5, v0
	v_sub_nc_u16 v7, v7, v8
	v_lshrrev_b32_e32 v1, 21, v1
	v_mul_lo_u16 v29, v28, 10
	v_lshrrev_b32_e32 v26, 19, v27
	v_mul_u32_u24_e32 v13, 0x78, v28
	v_and_b32_e32 v7, 0xff, v7
	v_mul_lo_u16 v1, v1, 60
	v_sub_nc_u16 v27, v11, v29
	v_mul_lo_u16 v32, v26, 10
	v_lshlrev_b32_e32 v2, 2, v2
	v_mul_u32_u24_e32 v8, 5, v7
	v_sub_nc_u16 v1, v11, v1
	v_and_b32_e32 v29, 0xffff, v27
	v_sub_nc_u16 v27, v10, v32
	v_mul_u32_u24_e32 v3, 0x8889, v3
	v_lshlrev_b32_e32 v8, 2, v8
	v_and_b32_e32 v1, 0xffff, v1
	v_mul_u32_u24_e32 v30, 5, v29
	v_and_b32_e32 v27, 0xffff, v27
	v_lshl_add_u32 v7, v7, 1, 0
	v_lshl_add_u32 v0, v0, 1, 0
	s_delay_alu instid0(VALU_DEP_4) | instskip(NEXT) | instid1(VALU_DEP_4)
	v_lshlrev_b32_e32 v30, 2, v30
	v_mul_u32_u24_e32 v32, 5, v27
	global_load_b128 v[79:82], v30, s[4:5]
	v_lshlrev_b32_e32 v32, 2, v32
	s_clause 0x2
	global_load_b32 v91, v30, s[4:5] offset:16
	global_load_b128 v[83:86], v32, s[4:5]
	global_load_b32 v92, v32, s[4:5] offset:16
	ds_load_u16 v93, v9 offset:1680
	ds_load_u16 v94, v9 offset:1800
	ds_load_u16 v95, v9
	ds_load_u16 v96, v9 offset:120
	ds_load_u16 v97, v9 offset:240
	;; [unrolled: 1-line block ×33, first 2 shown]
	global_wb scope:SCOPE_SE
	s_wait_loadcnt_dscnt 0x0
	s_barrier_signal -1
	s_barrier_wait -1
	global_inv scope:SCOPE_SE
	v_lshrrev_b32_e32 v127, 16, v64
	v_lshrrev_b32_e32 v129, 16, v66
	;; [unrolled: 1-line block ×5, first 2 shown]
	v_mul_f16_e64 v137, v110, v127
	v_mul_f16_e32 v127, v60, v127
	v_mul_f16_e64 v139, v102, v129
	v_mul_f16_e64 v129, v59, v129
	v_lshrrev_b32_e32 v130, 16, v87
	v_lshrrev_b32_e32 v132, 16, v68
	;; [unrolled: 1-line block ×5, first 2 shown]
	v_mul_f16_e64 v136, v108, v126
	v_mul_f16_e32 v126, v61, v126
	v_mul_f16_e64 v138, v117, v128
	v_fmac_f16_e64 v137, v60, v64
	v_fma_f16 v64, v110, v64, -v127
	v_fmac_f16_e64 v139, v59, v66
	v_fma_f16 v66, v102, v66, -v129
	v_mul_f16_e64 v127, v99, v131
	v_mul_f16_e64 v129, v57, v131
	;; [unrolled: 1-line block ×5, first 2 shown]
	v_fmac_f16_e64 v136, v61, v63
	v_lshrrev_b32_e32 v61, 16, v71
	v_fma_f16 v63, v108, v63, -v126
	v_lshrrev_b32_e32 v108, 16, v72
	v_lshrrev_b32_e32 v60, 16, v73
	v_fmac_f16_e64 v138, v62, v65
	v_lshrrev_b32_e32 v62, 16, v89
	v_mul_f16_e64 v131, v94, v132
	v_mul_f16_e64 v132, v52, v132
	v_fmac_f16_e32 v127, v57, v67
	v_mul_f16_e64 v57, v113, v133
	v_fma_f16 v67, v99, v67, -v129
	v_mul_f16_e64 v99, v105, v134
	v_mul_f16_e64 v129, v53, v134
	;; [unrolled: 1-line block ×3, first 2 shown]
	v_lshrrev_b32_e32 v110, 16, v74
	v_fma_f16 v65, v117, v65, -v128
	v_lshrrev_b32_e32 v117, 16, v75
	v_lshrrev_b32_e32 v59, 16, v76
	;; [unrolled: 1-line block ×5, first 2 shown]
	v_mul_f16_e64 v133, v58, v133
	v_fmac_f16_e64 v131, v52, v68
	v_mul_f16_e64 v52, v54, v135
	v_fma_f16 v68, v94, v68, -v132
	v_fmac_f16_e32 v57, v58, v69
	v_fmac_f16_e64 v140, v56, v87
	v_fma_f16 v87, v120, v87, -v130
	v_mul_f16_e32 v120, v107, v61
	v_mul_f16_e32 v61, v49, v61
	v_mul_f16_e64 v130, v109, v108
	v_mul_f16_e32 v108, v48, v108
	v_fmac_f16_e64 v134, v54, v88
	v_mul_f16_e32 v54, v116, v60
	v_mul_f16_e32 v60, v51, v60
	v_mul_f16_e64 v141, v119, v62
	v_lshrrev_b32_e32 v94, 16, v79
	v_lshrrev_b32_e32 v58, 16, v80
	v_fma_f16 v69, v113, v69, -v133
	v_lshrrev_b32_e32 v113, 16, v81
	v_lshrrev_b32_e32 v135, 16, v86
	;; [unrolled: 1-line block ×3, first 2 shown]
	v_fmac_f16_e32 v99, v53, v70
	v_lshrrev_b32_e32 v53, 16, v82
	v_fma_f16 v70, v105, v70, -v129
	v_lshrrev_b32_e32 v129, 16, v83
	v_lshrrev_b32_e32 v132, 16, v84
	;; [unrolled: 1-line block ×3, first 2 shown]
	v_fma_f16 v88, v123, v88, -v52
	v_mul_f16_e32 v123, v103, v110
	v_mul_f16_e32 v110, v50, v110
	;; [unrolled: 1-line block ×3, first 2 shown]
	v_fmac_f16_e32 v120, v49, v71
	v_mul_f16_e64 v142, v98, v117
	v_mul_f16_e32 v117, v40, v117
	v_fma_f16 v61, v107, v71, -v61
	v_mul_f16_e32 v71, v93, v59
	v_mul_f16_e32 v59, v31, v59
	v_fmac_f16_e64 v130, v48, v72
	v_mul_f16_e32 v107, v112, v102
	v_mul_f16_e32 v102, v46, v102
	v_fma_f16 v72, v109, v72, -v108
	v_mul_f16_e32 v108, v104, v126
	v_mul_f16_e32 v109, v41, v126
	v_fmac_f16_e32 v54, v51, v73
	v_mul_f16_e64 v126, v122, v128
	v_mul_f16_e64 v128, v47, v128
	v_fma_f16 v60, v116, v73, -v60
	v_mul_f16_e32 v52, v100, v94
	v_mul_f16_e32 v73, v35, v94
	;; [unrolled: 1-line block ×3, first 2 shown]
	v_fmac_f16_e64 v141, v33, v89
	v_mul_f16_e64 v51, v121, v135
	v_mul_f16_e32 v33, v125, v56
	v_mul_f16_e32 v56, v43, v56
	v_lshrrev_b32_e32 v105, 16, v91
	v_fmac_f16_e32 v123, v50, v74
	v_mul_f16_e32 v58, v34, v58
	v_fma_f16 v74, v103, v74, -v110
	v_mul_f16_e32 v103, v114, v113
	v_mul_f16_e32 v110, v44, v113
	;; [unrolled: 1-line block ×4, first 2 shown]
	v_mul_f16_e64 v48, v111, v129
	v_mul_f16_e64 v129, v37, v129
	;; [unrolled: 1-line block ×4, first 2 shown]
	v_fma_f16 v62, v119, v89, -v62
	v_mul_f16_e64 v89, v39, v135
	v_fmac_f16_e64 v142, v40, v75
	v_fma_f16 v40, v98, v75, -v117
	v_fmac_f16_e32 v71, v31, v76
	v_fma_f16 v59, v93, v76, -v59
	v_fmac_f16_e32 v107, v46, v77
	v_fma_f16 v46, v112, v77, -v102
	v_fmac_f16_e32 v108, v41, v78
	v_fma_f16 v41, v104, v78, -v109
	v_fmac_f16_e32 v126, v47, v90
	v_fma_f16 v47, v122, v90, -v128
	v_fmac_f16_e32 v94, v34, v80
	v_fmac_f16_e32 v51, v39, v86
	v_fma_f16 v34, v125, v92, -v56
	v_add_f16_e64 v39, v137, v139
	v_add_f16_e32 v56, v64, v66
	v_add_f16_e64 v76, v138, v140
	v_sub_f16_e32 v77, v65, v87
	v_add_f16_e32 v78, v63, v65
	v_add_f16_e32 v65, v65, v87
	v_mul_f16_e32 v116, v124, v105
	v_mul_f16_e32 v105, v45, v105
	v_mul_f16_e64 v132, v42, v132
	v_mul_f16_e64 v133, v38, v133
	v_fmac_f16_e32 v52, v35, v79
	v_fma_f16 v73, v100, v79, -v73
	v_fma_f16 v58, v101, v80, -v58
	v_fmac_f16_e32 v113, v36, v82
	v_fma_f16 v53, v106, v82, -v53
	v_fmac_f16_e32 v48, v37, v83
	;; [unrolled: 2-line block ×3, first 2 shown]
	v_fmac_f16_e32 v49, v38, v85
	v_fma_f16 v36, v121, v86, -v89
	v_fmac_f16_e32 v33, v43, v92
	v_add_f16_e64 v38, v25, v137
	v_sub_f16_e32 v42, v64, v66
	v_add_f16_e32 v43, v95, v64
	v_sub_f16_e64 v64, v137, v139
	v_add_f16_e64 v75, v136, v138
	v_sub_f16_e64 v79, v138, v140
	v_sub_f16_e32 v82, v68, v70
	v_add_f16_e32 v83, v55, v68
	v_add_f16_e32 v68, v68, v70
	v_fmac_f16_e32 v25, -0.5, v39
	v_fmac_f16_e32 v95, -0.5, v56
	v_fmac_f16_e64 v136, -0.5, v76
	v_add_f16_e32 v56, v78, v87
	v_fmac_f16_e32 v63, -0.5, v65
	v_sub_f16_e32 v86, v60, v62
	v_add_f16_e32 v87, v61, v60
	v_add_f16_e32 v60, v60, v62
	v_sub_f16_e32 v100, v46, v47
	v_add_f16_e32 v101, v40, v46
	v_add_f16_e32 v46, v46, v47
	v_fmac_f16_e32 v116, v45, v91
	v_fma_f16 v45, v124, v91, -v105
	v_fma_f16 v37, v118, v84, -v132
	v_fma_f16 v35, v115, v85, -v133
	v_add_f16_e64 v38, v38, v139
	v_add_f16_e32 v39, v43, v66
	v_add_f16_e64 v43, v75, v140
	v_add_f16_e64 v65, v24, v130
	v_sub_f16_e32 v75, v72, v74
	v_add_f16_e32 v76, v96, v72
	v_add_f16_e32 v72, v72, v74
	;; [unrolled: 1-line block ×3, first 2 shown]
	v_add_f16_e64 v85, v54, v141
	v_sub_f16_e64 v54, v54, v141
	v_add_f16_e32 v89, v23, v71
	v_sub_f16_e32 v91, v59, v41
	v_add_f16_e32 v92, v97, v59
	v_add_f16_e32 v59, v59, v41
	v_add_f16_e64 v93, v142, v107
	v_add_f16_e32 v98, v107, v126
	v_sub_f16_e32 v102, v107, v126
	v_fmac_f16_e32 v55, -0.5, v68
	v_fmamk_f16 v68, v42, 0xbaee, v25
	v_fmac_f16_e32 v25, 0x3aee, v42
	v_fmamk_f16 v42, v64, 0x3aee, v95
	v_fmac_f16_e32 v95, 0xbaee, v64
	v_fma_f16 v64, 0xbaee, v77, v136
	v_fmac_f16_e64 v136, 0x3aee, v77
	v_fmamk_f16 v77, v79, 0x3aee, v63
	v_fmac_f16_e32 v61, -0.5, v60
	v_fmac_f16_e32 v40, -0.5, v46
	v_fmac_f16_e32 v103, v44, v81
	v_fma_f16 v44, v114, v81, -v110
	v_add_f16_e64 v81, v131, v99
	v_add_f16_e64 v66, v130, v123
	v_add_f16_e32 v90, v71, v108
	v_sub_f16_e32 v71, v71, v108
	v_fmac_f16_e32 v63, 0xbaee, v79
	v_add_f16_e32 v79, v38, v43
	v_sub_f16_e32 v38, v38, v43
	v_add_f16_e32 v43, v65, v123
	v_fmac_f16_e32 v96, -0.5, v72
	v_add_f16_e64 v65, v84, v141
	v_fmac_f16_e32 v120, -0.5, v85
	v_add_f16_e32 v60, v89, v108
	v_add_f16_e32 v41, v92, v41
	v_fmac_f16_e32 v97, -0.5, v59
	v_add_f16_e32 v59, v93, v126
	v_fmac_f16_e64 v142, -0.5, v98
	v_add_f16_e32 v47, v101, v47
	v_mul_f16_e32 v46, 0xbaee, v77
	v_mul_f16_e32 v72, 0.5, v77
	v_fmamk_f16 v77, v54, 0x3aee, v61
	v_fmac_f16_e32 v61, 0xbaee, v54
	v_fmamk_f16 v84, v102, 0x3aee, v40
	v_add_f16_e64 v80, v22, v131
	v_sub_f16_e64 v78, v130, v123
	v_fmac_f16_e32 v22, -0.5, v81
	v_add_f16_e32 v81, v39, v56
	v_sub_f16_e32 v39, v39, v56
	v_fmac_f16_e32 v24, -0.5, v66
	v_add_f16_e32 v56, v76, v74
	v_fmamk_f16 v76, v86, 0xbaee, v120
	v_fmac_f16_e32 v120, 0x3aee, v86
	v_add_f16_e32 v54, v43, v65
	v_sub_f16_e32 v43, v43, v65
	v_fmamk_f16 v65, v71, 0x3aee, v97
	v_fmac_f16_e32 v97, 0xbaee, v71
	v_fma_f16 v71, 0xbaee, v100, v142
	v_fmac_f16_e32 v40, 0xbaee, v102
	v_add_f16_e32 v85, v60, v59
	v_add_f16_e32 v86, v41, v47
	v_sub_f16_e32 v59, v60, v59
	v_sub_f16_e32 v41, v41, v47
	v_fmac_f16_e32 v46, 0.5, v64
	v_fmac_f16_e32 v72, 0x3aee, v64
	v_mul_f16_e32 v47, 0xbaee, v77
	v_mul_f16_e32 v60, 0xbaee, v61
	v_mul_f16_e32 v64, 0.5, v77
	v_mul_f16_e32 v77, 0xbaee, v84
	v_mul_f16_e32 v84, 0.5, v84
	v_add_f16_e32 v62, v87, v62
	v_fmac_f16_e32 v23, -0.5, v90
	v_mul_f16_e32 v66, 0xbaee, v63
	v_fmamk_f16 v74, v75, 0xbaee, v24
	v_fmac_f16_e32 v24, 0x3aee, v75
	v_fmamk_f16 v75, v78, 0x3aee, v96
	v_fmac_f16_e64 v142, 0x3aee, v100
	v_mul_f16_e32 v87, 0xbaee, v40
	v_fmac_f16_e32 v60, -0.5, v120
	v_fmac_f16_e32 v64, 0x3aee, v76
	v_fmac_f16_e32 v84, 0x3aee, v71
	;; [unrolled: 1-line block ×3, first 2 shown]
	v_add_f16_e32 v78, v56, v62
	v_sub_f16_e32 v56, v56, v62
	v_fmamk_f16 v62, v91, 0xbaee, v23
	v_fmac_f16_e32 v23, 0x3aee, v91
	v_fmac_f16_e64 v66, -0.5, v136
	v_add_f16_e32 v89, v68, v46
	v_sub_f16_e32 v46, v68, v46
	v_fmac_f16_e32 v47, 0.5, v76
	v_fmac_f16_e32 v77, 0.5, v71
	v_fmac_f16_e64 v87, -0.5, v142
	v_add_f16_e32 v68, v24, v60
	v_add_f16_e32 v71, v75, v64
	v_sub_f16_e32 v24, v24, v60
	v_sub_f16_e32 v60, v75, v64
	v_add_f16_e32 v75, v65, v84
	v_sub_f16_e32 v65, v65, v84
	v_fmamk_f16 v84, v82, 0xbaee, v22
	v_fmac_f16_e32 v22, 0x3aee, v82
	v_add_f16_e32 v82, v69, v88
	v_add_f16_e32 v90, v25, v66
	v_sub_f16_e32 v25, v25, v66
	v_add_f16_e32 v66, v74, v47
	v_sub_f16_e32 v47, v74, v47
	v_add_f16_e32 v64, v62, v77
	v_add_f16_e32 v74, v23, v87
	v_sub_f16_e32 v62, v62, v77
	v_sub_f16_e32 v23, v23, v87
	v_sub_f16_e64 v77, v131, v99
	v_add_f16_e64 v87, v57, v134
	v_add_f16_e32 v93, v67, v69
	v_fmac_f16_e32 v67, -0.5, v82
	v_sub_f16_e64 v82, v57, v134
	v_add_f16_e32 v70, v83, v70
	v_fmamk_f16 v83, v77, 0x3aee, v55
	v_add_f16_e32 v57, v127, v57
	v_fmac_f16_e32 v127, -0.5, v87
	v_sub_f16_e32 v69, v69, v88
	v_fmac_f16_e32 v55, 0xbaee, v77
	v_fmamk_f16 v77, v82, 0x3aee, v67
	v_add_f16_e32 v80, v80, v99
	v_mul_f16_e32 v40, -0.5, v40
	v_fmac_f16_e32 v67, 0xbaee, v82
	v_add_f16_e64 v57, v57, v134
	v_fmamk_f16 v82, v69, 0xbaee, v127
	v_fmac_f16_e32 v127, 0x3aee, v69
	v_mul_f16_e32 v69, 0xbaee, v77
	v_mul_f16_e32 v77, 0.5, v77
	v_fmac_f16_e64 v40, 0x3aee, v142
	v_mul_f16_e32 v87, 0xbaee, v67
	v_add_f16_e32 v88, v93, v88
	v_mul_f16_e32 v67, -0.5, v67
	v_add_f16_e32 v93, v80, v57
	v_fmac_f16_e32 v77, 0x3aee, v82
	v_sub_f16_e32 v57, v80, v57
	v_add_f16_e32 v80, v94, v113
	v_mul_f16_e32 v63, -0.5, v63
	v_mul_f16_e32 v61, -0.5, v61
	v_add_f16_e32 v76, v97, v40
	v_sub_f16_e32 v40, v97, v40
	v_fmac_f16_e32 v69, 0.5, v82
	v_fmac_f16_e32 v67, 0x3aee, v127
	v_add_f16_e32 v97, v83, v77
	v_sub_f16_e32 v77, v83, v77
	v_add_f16_e32 v83, v21, v94
	v_fmac_f16_e32 v21, -0.5, v80
	v_sub_f16_e32 v80, v58, v53
	v_fmac_f16_e64 v63, 0x3aee, v136
	v_fmac_f16_e32 v61, 0x3aee, v120
	v_fmac_f16_e32 v87, -0.5, v127
	v_add_f16_e32 v82, v84, v69
	v_add_f16_e32 v98, v55, v67
	v_sub_f16_e32 v69, v84, v69
	v_sub_f16_e32 v55, v55, v67
	v_add_f16_e32 v67, v58, v53
	v_fmamk_f16 v84, v80, 0xbaee, v21
	v_fmac_f16_e32 v21, 0x3aee, v80
	v_add_f16_e32 v80, v44, v45
	v_add_f16_e32 v91, v42, v72
	;; [unrolled: 1-line block ×3, first 2 shown]
	v_sub_f16_e32 v42, v42, v72
	v_sub_f16_e32 v63, v95, v63
	v_add_f16_e32 v72, v96, v61
	v_sub_f16_e32 v61, v96, v61
	v_add_f16_e32 v95, v22, v87
	v_add_f16_e32 v96, v70, v88
	v_sub_f16_e32 v22, v22, v87
	v_sub_f16_e32 v70, v70, v88
	v_add_f16_e32 v58, v32, v58
	v_fmac_f16_e32 v32, -0.5, v67
	v_sub_f16_e32 v67, v94, v113
	v_add_f16_e32 v87, v103, v116
	v_add_f16_e32 v88, v73, v44
	v_fmac_f16_e32 v73, -0.5, v80
	v_sub_f16_e32 v80, v103, v116
	v_add_f16_e32 v53, v58, v53
	v_fmamk_f16 v58, v67, 0x3aee, v32
	v_add_f16_e32 v94, v52, v103
	v_fmac_f16_e32 v52, -0.5, v87
	v_sub_f16_e32 v44, v44, v45
	v_fmac_f16_e32 v32, 0xbaee, v67
	v_fmamk_f16 v67, v80, 0x3aee, v73
	v_fmac_f16_e32 v73, 0xbaee, v80
	v_add_f16_e32 v45, v88, v45
	v_fmamk_f16 v87, v44, 0xbaee, v52
	v_fmac_f16_e32 v52, 0x3aee, v44
	v_mul_f16_e32 v44, 0xbaee, v67
	v_mul_f16_e32 v67, 0.5, v67
	v_add_f16_e32 v80, v94, v116
	v_mul_f16_e32 v94, 0xbaee, v73
	v_mul_f16_e32 v73, -0.5, v73
	v_add_f16_e32 v99, v53, v45
	v_fmac_f16_e32 v67, 0x3aee, v87
	v_sub_f16_e32 v45, v53, v45
	v_add_f16_e32 v53, v50, v51
	v_fmac_f16_e32 v73, 0x3aee, v52
	v_add_f16_e32 v83, v83, v113
	v_add_f16_e32 v100, v58, v67
	v_sub_f16_e32 v58, v58, v67
	v_add_f16_e32 v67, v20, v50
	v_fmac_f16_e32 v20, -0.5, v53
	v_sub_f16_e32 v53, v37, v36
	v_add_f16_e32 v101, v32, v73
	v_sub_f16_e32 v32, v32, v73
	v_add_f16_e32 v73, v37, v36
	v_add_f16_e32 v67, v67, v51
	v_sub_f16_e32 v50, v50, v51
	v_fmamk_f16 v51, v53, 0xbaee, v20
	v_fmac_f16_e32 v20, 0x3aee, v53
	v_add_f16_e32 v53, v35, v34
	v_add_f16_e32 v88, v83, v80
	v_sub_f16_e32 v80, v83, v80
	v_add_f16_e32 v37, v30, v37
	v_fmac_f16_e32 v30, -0.5, v73
	v_add_f16_e32 v73, v49, v33
	v_add_f16_e32 v83, v31, v35
	v_fmac_f16_e32 v31, -0.5, v53
	v_sub_f16_e32 v53, v49, v33
	v_add_f16_e32 v36, v37, v36
	v_fmamk_f16 v37, v50, 0x3aee, v30
	v_add_f16_e32 v49, v48, v49
	v_fmac_f16_e32 v48, -0.5, v73
	v_sub_f16_e32 v35, v35, v34
	v_fmac_f16_e32 v30, 0xbaee, v50
	v_fmamk_f16 v50, v53, 0x3aee, v31
	v_fmac_f16_e32 v31, 0xbaee, v53
	v_add_f16_e32 v33, v49, v33
	v_fmamk_f16 v49, v35, 0xbaee, v48
	v_fmac_f16_e32 v48, 0x3aee, v35
	v_fmac_f16_e32 v94, -0.5, v52
	v_mul_f16_e32 v53, 0xbaee, v31
	v_mul_f16_e32 v31, -0.5, v31
	v_mul_f16_e32 v35, 0xbaee, v50
	v_mul_f16_e32 v50, 0.5, v50
	v_fmac_f16_e32 v44, 0.5, v87
	v_add_f16_e32 v87, v21, v94
	v_fmac_f16_e32 v31, 0x3aee, v48
	v_sub_f16_e32 v21, v21, v94
	v_add_f16_e32 v34, v83, v34
	v_fmac_f16_e32 v50, 0x3aee, v49
	v_add_f16_e32 v52, v84, v44
	v_add_f16_e32 v94, v30, v31
	v_sub_f16_e32 v30, v30, v31
	v_add3_u32 v31, 0, v16, v14
	v_mul_u32_u24_e32 v14, 0x78, v15
	v_lshlrev_b32_e32 v15, 1, v19
	v_sub_f16_e32 v44, v84, v44
	v_add_f16_e32 v83, v36, v34
	v_add_f16_e32 v84, v37, v50
	v_sub_f16_e32 v34, v36, v34
	v_sub_f16_e32 v36, v37, v50
	v_add3_u32 v37, 0, v17, v18
	v_add3_u32 v19, 0, v14, v15
	v_lshlrev_b32_e32 v14, 1, v29
	v_fmac_f16_e32 v35, 0.5, v49
	v_fmac_f16_e32 v53, -0.5, v48
	ds_store_b16 v31, v79
	ds_store_b16 v31, v89 offset:20
	ds_store_b16 v31, v90 offset:40
	ds_store_b16 v31, v38 offset:60
	ds_store_b16 v31, v46 offset:80
	ds_store_b16 v31, v25 offset:100
	ds_store_b16 v37, v54
	ds_store_b16 v37, v66 offset:20
	ds_store_b16 v37, v68 offset:40
	ds_store_b16 v37, v43 offset:60
	ds_store_b16 v37, v47 offset:80
	ds_store_b16 v37, v24 offset:100
	;; [unrolled: 6-line block ×3, first 2 shown]
	v_add3_u32 v23, 0, v13, v14
	v_mul_u32_u24_e32 v13, 0x78, v26
	v_lshlrev_b32_e32 v14, 1, v27
	v_add_f16_e32 v73, v67, v33
	v_add_f16_e32 v48, v51, v35
	;; [unrolled: 1-line block ×3, first 2 shown]
	v_sub_f16_e32 v33, v67, v33
	v_sub_f16_e32 v35, v51, v35
	;; [unrolled: 1-line block ×3, first 2 shown]
	ds_store_b16 v12, v93
	ds_store_b16 v12, v82 offset:20
	ds_store_b16 v12, v95 offset:40
	ds_store_b16 v12, v57 offset:60
	ds_store_b16 v12, v69 offset:80
	ds_store_b16 v12, v22 offset:100
	v_add3_u32 v22, 0, v13, v14
	ds_store_b16 v23, v88
	ds_store_b16 v23, v52 offset:20
	ds_store_b16 v23, v87 offset:40
	;; [unrolled: 1-line block ×5, first 2 shown]
	ds_store_b16 v22, v73
	ds_store_b16 v22, v48 offset:20
	ds_store_b16 v22, v49 offset:40
	;; [unrolled: 1-line block ×5, first 2 shown]
	global_wb scope:SCOPE_SE
	s_wait_dscnt 0x0
	s_barrier_signal -1
	s_barrier_wait -1
	global_inv scope:SCOPE_SE
	ds_load_u16 v43, v9 offset:1680
	ds_load_u16 v44, v9 offset:1800
	ds_load_u16 v18, v9
	ds_load_u16 v17, v9 offset:120
	ds_load_u16 v16, v9 offset:240
	;; [unrolled: 1-line block ×33, first 2 shown]
	global_wb scope:SCOPE_SE
	s_wait_dscnt 0x0
	s_barrier_signal -1
	s_barrier_wait -1
	global_inv scope:SCOPE_SE
	ds_store_b16 v31, v81
	ds_store_b16 v31, v91 offset:20
	ds_store_b16 v31, v92 offset:40
	ds_store_b16 v31, v39 offset:60
	ds_store_b16 v31, v42 offset:80
	ds_store_b16 v31, v63 offset:100
	ds_store_b16 v37, v78
	ds_store_b16 v37, v71 offset:20
	ds_store_b16 v37, v72 offset:40
	ds_store_b16 v37, v56 offset:60
	ds_store_b16 v37, v60 offset:80
	ds_store_b16 v37, v61 offset:100
	;; [unrolled: 6-line block ×5, first 2 shown]
	v_mul_u32_u24_e32 v12, 5, v6
	ds_store_b16 v22, v83
	ds_store_b16 v22, v84 offset:20
	ds_store_b16 v22, v94 offset:40
	;; [unrolled: 1-line block ×5, first 2 shown]
	global_wb scope:SCOPE_SE
	s_wait_dscnt 0x0
	s_barrier_signal -1
	s_barrier_wait -1
	v_lshlrev_b32_e32 v12, 2, v12
	global_inv scope:SCOPE_SE
	s_clause 0x5
	global_load_b128 v[25:28], v8, s[4:5] offset:200
	global_load_b32 v41, v8, s[4:5] offset:216
	global_load_b128 v[29:32], v2, s[4:5] offset:200
	global_load_b32 v42, v2, s[4:5] offset:216
	;; [unrolled: 2-line block ×3, first 2 shown]
	v_lshrrev_b32_e32 v2, 21, v3
	v_mul_u32_u24_e32 v8, 5, v1
	v_lshl_add_u32 v1, v1, 1, 0
	s_delay_alu instid0(VALU_DEP_3) | instskip(NEXT) | instid1(VALU_DEP_3)
	v_mul_lo_u16 v2, v2, 60
	v_lshlrev_b32_e32 v3, 2, v8
	s_delay_alu instid0(VALU_DEP_2) | instskip(SKIP_4) | instid1(VALU_DEP_1)
	v_sub_nc_u16 v2, v10, v2
	s_clause 0x1
	global_load_b128 v[33:36], v3, s[4:5] offset:200
	global_load_b32 v45, v3, s[4:5] offset:216
	v_and_b32_e32 v2, 0xffff, v2
	v_mul_u32_u24_e32 v8, 5, v2
	v_lshl_add_u32 v2, v2, 1, 0
	s_delay_alu instid0(VALU_DEP_2)
	v_lshlrev_b32_e32 v3, 2, v8
	s_clause 0x1
	global_load_b128 v[37:40], v3, s[4:5] offset:200
	global_load_b32 v55, v3, s[4:5] offset:216
	ds_load_u16 v56, v9 offset:1680
	ds_load_u16 v58, v9 offset:1800
	ds_load_u16 v60, v9
	ds_load_u16 v61, v9 offset:120
	ds_load_u16 v63, v9 offset:240
	ds_load_u16 v20, v9 offset:360
	ds_load_u16 v8, v9 offset:480
	ds_load_u16 v65, v9 offset:960
	ds_load_u16 v70, v9 offset:1080
	ds_load_u16 v71, v9 offset:1200
	ds_load_u16 v72, v9 offset:1920
	ds_load_u16 v75, v9 offset:2880
	ds_load_u16 v76, v9 offset:3000
	ds_load_u16 v77, v9 offset:3120
	ds_load_u16 v78, v9 offset:3240
	ds_load_u16 v81, v9 offset:3360
	ds_load_u16 v83, v9 offset:840
	ds_load_u16 v84, v9 offset:720
	ds_load_u16 v3, v9 offset:600
	ds_load_u16 v86, v9 offset:1560
	ds_load_u16 v91, v9 offset:1440
	ds_load_u16 v92, v9 offset:1320
	ds_load_u16 v94, v9 offset:2280
	ds_load_u16 v95, v9 offset:2400
	ds_load_u16 v96, v9 offset:2520
	ds_load_u16 v97, v9 offset:2640
	ds_load_u16 v98, v9 offset:2760
	ds_load_u16 v99, v9 offset:2160
	ds_load_u16 v100, v9 offset:2040
	ds_load_u16 v101, v9 offset:3720
	ds_load_u16 v102, v9 offset:3600
	ds_load_u16 v103, v9 offset:3480
	ds_load_u16 v106, v9 offset:3840
	ds_load_u16 v107, v9 offset:3960
	ds_load_u16 v108, v9 offset:4080
	ds_load_u16 v109, v9 offset:4200
	global_wb scope:SCOPE_SE
	s_wait_loadcnt_dscnt 0x0
	s_barrier_signal -1
	s_barrier_wait -1
	global_inv scope:SCOPE_SE
	v_lshrrev_b32_e32 v105, 16, v22
	v_lshrrev_b32_e32 v104, 16, v21
	v_lshrrev_b32_e32 v110, 16, v23
	v_lshrrev_b32_e32 v114, 16, v24
	s_delay_alu instid0(VALU_DEP_4) | instskip(NEXT) | instid1(VALU_DEP_4)
	v_mul_f16_e32 v113, v91, v105
	v_mul_f16_e32 v111, v84, v104
	;; [unrolled: 1-line block ×4, first 2 shown]
	s_delay_alu instid0(VALU_DEP_4)
	v_fmac_f16_e32 v113, v64, v22
	v_mul_f16_e32 v64, v99, v110
	v_fmac_f16_e32 v111, v59, v21
	v_fma_f16 v59, v84, v21, -v112
	v_fma_f16 v84, v91, v22, -v115
	v_mul_f16_e32 v91, v79, v110
	v_lshrrev_b32_e32 v112, 16, v19
	v_mul_f16_e32 v115, v75, v114
	v_fmac_f16_e32 v64, v79, v23
	v_mul_f16_e32 v79, v50, v114
	v_fma_f16 v91, v99, v23, -v91
	v_mul_f16_e32 v99, v102, v112
	v_fmac_f16_e32 v115, v50, v24
	v_mul_f16_e32 v50, v85, v112
	v_fma_f16 v75, v75, v24, -v79
	;; [unrolled: 4-line block ×5, first 2 shown]
	v_mul_f16_e32 v57, v76, v114
	v_mul_f16_e32 v62, v51, v114
	v_fmac_f16_e32 v85, v74, v23
	v_fma_f16 v23, v94, v23, -v21
	v_mul_f16_e32 v74, v101, v112
	v_fmac_f16_e32 v57, v51, v24
	v_mul_f16_e32 v21, v82, v112
	v_fma_f16 v24, v76, v24, -v62
	v_lshrrev_b32_e32 v51, 16, v25
	v_lshrrev_b32_e32 v62, 16, v26
	v_fmac_f16_e32 v74, v82, v19
	v_fma_f16 v76, v101, v19, -v21
	v_lshrrev_b32_e32 v19, 16, v27
	v_mul_f16_e32 v82, v65, v51
	v_mul_f16_e32 v21, v46, v51
	;; [unrolled: 1-line block ×3, first 2 shown]
	v_lshrrev_b32_e32 v51, 16, v28
	v_mul_f16_e32 v62, v43, v62
	v_fmac_f16_e32 v82, v46, v25
	v_fma_f16 v25, v65, v25, -v21
	v_fmac_f16_e32 v86, v43, v26
	v_mul_f16_e32 v43, v95, v19
	v_mul_f16_e32 v19, v67, v19
	v_lshrrev_b32_e32 v21, 16, v41
	v_mul_f16_e32 v46, v77, v51
	v_mul_f16_e32 v51, v52, v51
	v_fma_f16 v26, v56, v26, -v62
	v_fmac_f16_e32 v43, v67, v27
	v_fma_f16 v27, v95, v27, -v19
	v_mul_f16_e32 v56, v106, v21
	v_fmac_f16_e32 v46, v52, v28
	v_mul_f16_e32 v19, v88, v21
	v_fma_f16 v28, v77, v28, -v51
	v_lshrrev_b32_e32 v21, 16, v29
	v_lshrrev_b32_e32 v51, 16, v30
	v_fmac_f16_e32 v56, v88, v41
	v_fma_f16 v41, v106, v41, -v19
	v_lshrrev_b32_e32 v19, 16, v31
	v_mul_f16_e32 v62, v70, v21
	v_mul_f16_e32 v21, v47, v21
	v_mul_f16_e32 v65, v58, v51
	v_lshrrev_b32_e32 v52, 16, v32
	v_mul_f16_e32 v51, v44, v51
	v_fmac_f16_e32 v62, v47, v29
	v_fma_f16 v29, v70, v29, -v21
	v_fmac_f16_e32 v65, v44, v30
	v_mul_f16_e32 v44, v96, v19
	v_fma_f16 v30, v58, v30, -v51
	v_mul_f16_e32 v19, v68, v19
	v_lshrrev_b32_e32 v21, 16, v42
	v_mul_f16_e32 v47, v78, v52
	v_mul_f16_e32 v51, v53, v52
	v_fmac_f16_e32 v44, v68, v31
	v_fma_f16 v31, v96, v31, -v19
	v_mul_f16_e32 v58, v107, v21
	v_fmac_f16_e32 v47, v53, v32
	v_mul_f16_e32 v19, v89, v21
	v_fma_f16 v32, v78, v32, -v51
	v_lshrrev_b32_e32 v21, 16, v33
	v_lshrrev_b32_e32 v51, 16, v34
	v_fmac_f16_e32 v58, v89, v42
	v_fma_f16 v42, v107, v42, -v19
	v_lshrrev_b32_e32 v19, 16, v35
	v_mul_f16_e32 v67, v71, v21
	v_mul_f16_e32 v21, v48, v21
	;; [unrolled: 1-line block ×3, first 2 shown]
	v_lshrrev_b32_e32 v52, 16, v36
	v_mul_f16_e32 v51, v49, v51
	v_fmac_f16_e32 v67, v48, v33
	v_fma_f16 v33, v71, v33, -v21
	v_fmac_f16_e32 v68, v49, v34
	v_mul_f16_e32 v48, v97, v19
	v_mul_f16_e32 v19, v69, v19
	v_lshrrev_b32_e32 v21, 16, v45
	v_mul_f16_e32 v70, v81, v52
	v_mul_f16_e32 v49, v54, v52
	v_fmac_f16_e32 v48, v69, v35
	v_fma_f16 v35, v97, v35, -v19
	v_mul_f16_e32 v69, v108, v21
	v_fmac_f16_e32 v70, v54, v36
	v_mul_f16_e32 v19, v90, v21
	v_fma_f16 v36, v81, v36, -v49
	v_lshrrev_b32_e32 v21, 16, v37
	v_lshrrev_b32_e32 v49, 16, v38
	v_fma_f16 v34, v72, v34, -v51
	v_fmac_f16_e32 v69, v90, v45
	v_fma_f16 v45, v108, v45, -v19
	v_lshrrev_b32_e32 v51, 16, v39
	v_mul_f16_e32 v19, v92, v21
	v_mul_f16_e32 v21, v66, v21
	v_mul_f16_e32 v71, v100, v49
	v_mul_f16_e32 v49, v80, v49
	v_lshrrev_b32_e32 v52, 16, v40
	v_fmac_f16_e32 v19, v66, v37
	v_fma_f16 v21, v92, v37, -v21
	v_fmac_f16_e32 v71, v80, v38
	v_mul_f16_e32 v37, v98, v51
	v_fma_f16 v38, v100, v38, -v49
	v_mul_f16_e32 v49, v73, v51
	v_lshrrev_b32_e32 v51, 16, v55
	v_mul_f16_e32 v66, v103, v52
	v_fmac_f16_e32 v37, v73, v39
	v_mul_f16_e32 v52, v87, v52
	v_fma_f16 v39, v98, v39, -v49
	v_mul_f16_e32 v72, v109, v51
	v_mul_f16_e32 v49, v93, v51
	v_add_f16_e32 v51, v113, v115
	v_fmac_f16_e32 v66, v87, v40
	v_fma_f16 v40, v103, v40, -v52
	v_add_f16_e32 v52, v18, v113
	v_fmac_f16_e32 v72, v93, v55
	v_fmac_f16_e32 v18, -0.5, v51
	v_sub_f16_e32 v51, v84, v75
	v_fma_f16 v55, v109, v55, -v49
	v_add_f16_e32 v49, v84, v75
	v_add_f16_e32 v53, v60, v84
	;; [unrolled: 1-line block ×3, first 2 shown]
	v_fmamk_f16 v54, v51, 0xbaee, v18
	v_fmac_f16_e32 v18, 0x3aee, v51
	v_add_f16_e32 v51, v91, v50
	v_fmac_f16_e32 v60, -0.5, v49
	v_sub_f16_e32 v49, v113, v115
	v_add_f16_e32 v53, v53, v75
	v_add_f16_e32 v75, v64, v99
	v_fmac_f16_e32 v59, -0.5, v51
	v_sub_f16_e32 v51, v64, v99
	v_fmamk_f16 v73, v49, 0x3aee, v60
	v_add_f16_e32 v64, v111, v64
	v_fmac_f16_e32 v111, -0.5, v75
	v_sub_f16_e32 v75, v91, v50
	v_fmac_f16_e32 v60, 0xbaee, v49
	v_fmamk_f16 v49, v51, 0x3aee, v59
	v_fmac_f16_e32 v59, 0xbaee, v51
	v_add_f16_e32 v52, v52, v115
	v_add_f16_e32 v64, v64, v99
	v_fmamk_f16 v51, v75, 0xbaee, v111
	v_fmac_f16_e32 v111, 0x3aee, v75
	v_mul_f16_e32 v75, 0xbaee, v49
	v_mul_f16_e32 v78, 0xbaee, v59
	v_add_f16_e32 v77, v77, v50
	v_mul_f16_e32 v80, 0.5, v49
	v_mul_f16_e32 v59, -0.5, v59
	v_fmac_f16_e32 v75, 0.5, v51
	v_add_f16_e32 v81, v52, v64
	v_add_f16_e32 v49, v53, v77
	v_fmac_f16_e32 v80, 0x3aee, v51
	v_fmac_f16_e32 v59, 0x3aee, v111
	v_sub_f16_e32 v64, v52, v64
	v_sub_f16_e32 v52, v53, v77
	v_add_f16_e32 v77, v102, v57
	v_add_f16_e32 v84, v54, v75
	;; [unrolled: 1-line block ×4, first 2 shown]
	v_sub_f16_e32 v75, v54, v75
	v_sub_f16_e32 v53, v73, v80
	v_add_f16_e32 v73, v17, v102
	v_sub_f16_e32 v54, v60, v59
	v_add_f16_e32 v59, v22, v24
	v_fmac_f16_e32 v17, -0.5, v77
	v_sub_f16_e32 v60, v22, v24
	v_fmac_f16_e32 v78, -0.5, v111
	v_add_f16_e32 v22, v61, v22
	v_fmac_f16_e32 v61, -0.5, v59
	v_add_f16_e32 v73, v73, v57
	v_fmamk_f16 v59, v60, 0xbaee, v17
	v_fmac_f16_e32 v17, 0x3aee, v60
	v_add_f16_e32 v60, v23, v76
	v_add_f16_e32 v87, v18, v78
	v_sub_f16_e32 v18, v18, v78
	v_sub_f16_e32 v57, v102, v57
	v_add_f16_e32 v77, v85, v74
	v_add_f16_e32 v78, v83, v23
	v_fmac_f16_e32 v83, -0.5, v60
	v_sub_f16_e32 v60, v85, v74
	v_add_f16_e32 v22, v22, v24
	v_fmamk_f16 v24, v57, 0x3aee, v61
	v_add_f16_e32 v80, v79, v85
	v_fmac_f16_e32 v79, -0.5, v77
	v_sub_f16_e32 v23, v23, v76
	v_fmac_f16_e32 v61, 0xbaee, v57
	v_fmamk_f16 v57, v60, 0x3aee, v83
	v_fmac_f16_e32 v83, 0xbaee, v60
	v_add_f16_e32 v60, v80, v74
	v_fmamk_f16 v74, v23, 0xbaee, v79
	v_fmac_f16_e32 v79, 0x3aee, v23
	v_mul_f16_e32 v23, 0xbaee, v57
	v_add_f16_e32 v76, v78, v76
	v_mul_f16_e32 v57, 0.5, v57
	v_mul_f16_e32 v77, 0xbaee, v83
	v_mul_f16_e32 v78, -0.5, v83
	v_fmac_f16_e32 v23, 0.5, v74
	v_add_f16_e32 v83, v22, v76
	v_fmac_f16_e32 v57, 0x3aee, v74
	v_add_f16_e32 v80, v73, v60
	v_sub_f16_e32 v60, v73, v60
	v_add_f16_e32 v74, v59, v23
	v_sub_f16_e32 v23, v59, v23
	v_sub_f16_e32 v59, v22, v76
	v_add_f16_e32 v22, v86, v46
	v_add_f16_e32 v85, v24, v57
	v_sub_f16_e32 v57, v24, v57
	v_add_f16_e32 v24, v16, v86
	v_add_f16_e32 v73, v26, v28
	v_fmac_f16_e32 v16, -0.5, v22
	v_sub_f16_e32 v22, v26, v28
	v_fmac_f16_e32 v77, -0.5, v79
	v_add_f16_e32 v26, v63, v26
	v_fmac_f16_e32 v63, -0.5, v73
	v_fmac_f16_e32 v78, 0x3aee, v79
	v_fmamk_f16 v73, v22, 0xbaee, v16
	v_fmac_f16_e32 v16, 0x3aee, v22
	v_add_f16_e32 v22, v27, v41
	v_add_f16_e32 v79, v17, v77
	v_sub_f16_e32 v17, v17, v77
	v_add_f16_e32 v24, v24, v46
	v_sub_f16_e32 v46, v86, v46
	v_add_f16_e32 v76, v43, v56
	v_add_f16_e32 v77, v25, v27
	v_fmac_f16_e32 v25, -0.5, v22
	v_sub_f16_e32 v22, v43, v56
	v_add_f16_e32 v26, v26, v28
	v_fmamk_f16 v28, v46, 0x3aee, v63
	v_add_f16_e32 v43, v82, v43
	v_fmac_f16_e32 v82, -0.5, v76
	v_sub_f16_e32 v27, v27, v41
	v_fmac_f16_e32 v63, 0xbaee, v46
	v_fmamk_f16 v46, v22, 0x3aee, v25
	v_fmac_f16_e32 v25, 0xbaee, v22
	v_add_f16_e32 v22, v43, v56
	v_fmamk_f16 v43, v27, 0xbaee, v82
	v_fmac_f16_e32 v82, 0x3aee, v27
	v_mul_f16_e32 v27, 0xbaee, v46
	v_mul_f16_e32 v56, 0xbaee, v25
	v_add_f16_e32 v41, v77, v41
	v_add_f16_e32 v88, v61, v78
	v_sub_f16_e32 v61, v61, v78
	v_mul_f16_e32 v46, 0.5, v46
	v_fmac_f16_e32 v56, -0.5, v82
	v_mul_f16_e32 v25, -0.5, v25
	v_fmac_f16_e32 v27, 0.5, v43
	v_add_f16_e32 v78, v26, v41
	v_add_f16_e32 v76, v24, v22
	v_add_f16_e32 v77, v16, v56
	v_sub_f16_e32 v16, v16, v56
	v_sub_f16_e32 v56, v26, v41
	v_add_f16_e32 v26, v65, v47
	v_fmac_f16_e32 v46, 0x3aee, v43
	v_fmac_f16_e32 v25, 0x3aee, v82
	v_add_f16_e32 v43, v73, v27
	v_sub_f16_e32 v22, v24, v22
	v_sub_f16_e32 v24, v73, v27
	v_add_f16_e32 v27, v15, v65
	v_fmac_f16_e32 v15, -0.5, v26
	v_sub_f16_e32 v26, v30, v32
	v_add_f16_e32 v82, v28, v46
	v_add_f16_e32 v86, v63, v25
	v_sub_f16_e32 v73, v28, v46
	v_sub_f16_e32 v63, v63, v25
	v_add_f16_e32 v25, v30, v32
	v_add_f16_e32 v28, v20, v30
	v_fmamk_f16 v30, v26, 0xbaee, v15
	v_fmac_f16_e32 v15, 0x3aee, v26
	v_add_f16_e32 v26, v31, v42
	v_fmac_f16_e32 v20, -0.5, v25
	v_sub_f16_e32 v25, v65, v47
	v_add_f16_e32 v41, v44, v58
	v_add_f16_e32 v46, v29, v31
	v_fmac_f16_e32 v29, -0.5, v26
	v_sub_f16_e32 v26, v44, v58
	v_add_f16_e32 v28, v28, v32
	v_fmamk_f16 v32, v25, 0x3aee, v20
	v_add_f16_e32 v44, v62, v44
	v_fmac_f16_e32 v62, -0.5, v41
	v_sub_f16_e32 v31, v31, v42
	v_fmac_f16_e32 v20, 0xbaee, v25
	v_fmamk_f16 v25, v26, 0x3aee, v29
	v_fmac_f16_e32 v29, 0xbaee, v26
	v_add_f16_e32 v42, v46, v42
	v_fmamk_f16 v41, v31, 0xbaee, v62
	v_fmac_f16_e32 v62, 0x3aee, v31
	v_mul_f16_e32 v31, 0xbaee, v25
	v_mul_f16_e32 v25, 0.5, v25
	v_add_f16_e32 v26, v44, v58
	v_mul_f16_e32 v44, 0xbaee, v29
	v_mul_f16_e32 v29, -0.5, v29
	v_add_f16_e32 v58, v28, v42
	v_fmac_f16_e32 v25, 0x3aee, v41
	v_sub_f16_e32 v89, v28, v42
	v_add_f16_e32 v28, v68, v70
	v_add_f16_e32 v27, v27, v47
	v_fmac_f16_e32 v31, 0.5, v41
	v_fmac_f16_e32 v44, -0.5, v62
	v_fmac_f16_e32 v29, 0x3aee, v62
	v_add_f16_e32 v62, v32, v25
	v_sub_f16_e32 v90, v32, v25
	v_add_f16_e32 v25, v14, v68
	v_fmac_f16_e32 v14, -0.5, v28
	v_sub_f16_e32 v28, v34, v36
	v_add_f16_e32 v46, v27, v26
	v_add_f16_e32 v41, v30, v31
	;; [unrolled: 1-line block ×3, first 2 shown]
	v_sub_f16_e32 v26, v27, v26
	v_sub_f16_e32 v27, v30, v31
	;; [unrolled: 1-line block ×3, first 2 shown]
	v_add_f16_e32 v20, v34, v36
	v_fmamk_f16 v30, v28, 0xbaee, v14
	v_fmac_f16_e32 v14, 0x3aee, v28
	v_add_f16_e32 v28, v35, v45
	v_add_f16_e32 v29, v8, v34
	v_fmac_f16_e32 v8, -0.5, v20
	v_sub_f16_e32 v20, v68, v70
	v_add_f16_e32 v32, v48, v69
	v_add_f16_e32 v34, v33, v35
	v_fmac_f16_e32 v33, -0.5, v28
	v_sub_f16_e32 v28, v48, v69
	v_add_f16_e32 v29, v29, v36
	v_fmamk_f16 v31, v20, 0x3aee, v8
	v_add_f16_e32 v36, v67, v48
	v_fmac_f16_e32 v67, -0.5, v32
	v_sub_f16_e32 v32, v35, v45
	v_fmac_f16_e32 v8, 0xbaee, v20
	v_fmamk_f16 v20, v28, 0x3aee, v33
	v_fmac_f16_e32 v33, 0xbaee, v28
	v_add_f16_e32 v28, v36, v69
	v_fmamk_f16 v35, v32, 0xbaee, v67
	v_fmac_f16_e32 v67, 0x3aee, v32
	v_mul_f16_e32 v32, 0xbaee, v20
	v_mul_f16_e32 v36, 0xbaee, v33
	v_add_f16_e32 v34, v34, v45
	v_mul_f16_e32 v20, 0.5, v20
	v_mul_f16_e32 v33, -0.5, v33
	v_add_f16_e32 v25, v25, v70
	v_fmac_f16_e32 v36, -0.5, v67
	v_sub_f16_e32 v70, v29, v34
	v_fmac_f16_e32 v20, 0x3aee, v35
	v_fmac_f16_e32 v33, 0x3aee, v67
	v_add_f16_e32 v67, v29, v34
	v_add_f16_e32 v29, v71, v66
	v_fmac_f16_e32 v32, 0.5, v35
	v_add_f16_e32 v68, v31, v20
	v_sub_f16_e32 v92, v31, v20
	v_add_f16_e32 v20, v13, v71
	v_fmac_f16_e32 v13, -0.5, v29
	v_sub_f16_e32 v29, v38, v40
	v_add_f16_e32 v42, v25, v28
	v_add_f16_e32 v35, v30, v32
	v_sub_f16_e32 v25, v25, v28
	v_sub_f16_e32 v28, v30, v32
	v_add_f16_e32 v30, v38, v40
	v_fmamk_f16 v32, v29, 0xbaee, v13
	v_fmac_f16_e32 v13, 0x3aee, v29
	v_add_f16_e32 v29, v39, v55
	v_add_f16_e32 v47, v15, v44
	v_sub_f16_e32 v15, v15, v44
	v_add_f16_e32 v44, v14, v36
	v_sub_f16_e32 v14, v14, v36
	v_add_f16_e32 v31, v3, v38
	v_fmac_f16_e32 v3, -0.5, v30
	v_sub_f16_e32 v30, v71, v66
	v_add_f16_e32 v34, v37, v72
	v_add_f16_e32 v36, v21, v39
	v_fmac_f16_e32 v21, -0.5, v29
	v_sub_f16_e32 v29, v37, v72
	v_add_f16_e32 v69, v8, v33
	v_sub_f16_e32 v8, v8, v33
	v_fmamk_f16 v33, v30, 0x3aee, v3
	v_add_f16_e32 v37, v19, v37
	v_fmac_f16_e32 v19, -0.5, v34
	v_sub_f16_e32 v34, v39, v55
	v_fmac_f16_e32 v3, 0xbaee, v30
	v_fmamk_f16 v30, v29, 0x3aee, v21
	v_fmac_f16_e32 v21, 0xbaee, v29
	v_add_f16_e32 v29, v37, v72
	v_fmamk_f16 v37, v34, 0xbaee, v19
	v_fmac_f16_e32 v19, 0x3aee, v34
	v_mul_f16_e32 v34, 0xbaee, v30
	v_mul_f16_e32 v38, 0xbaee, v21
	v_mul_f16_e32 v30, 0.5, v30
	v_mul_f16_e32 v21, -0.5, v21
	v_add_f16_e32 v20, v20, v66
	v_fmac_f16_e32 v34, 0.5, v37
	v_fmac_f16_e32 v38, -0.5, v19
	v_add_f16_e32 v31, v31, v40
	v_add_f16_e32 v36, v36, v55
	v_fmac_f16_e32 v30, 0x3aee, v37
	v_fmac_f16_e32 v21, 0x3aee, v19
	v_add_f16_e32 v39, v20, v29
	v_add_f16_e32 v19, v32, v34
	;; [unrolled: 1-line block ×3, first 2 shown]
	v_sub_f16_e32 v20, v20, v29
	v_sub_f16_e32 v29, v32, v34
	;; [unrolled: 1-line block ×3, first 2 shown]
	v_add_f16_e32 v55, v31, v36
	v_add_f16_e32 v66, v33, v30
	;; [unrolled: 1-line block ×3, first 2 shown]
	v_sub_f16_e32 v72, v31, v36
	v_sub_f16_e32 v93, v33, v30
	;; [unrolled: 1-line block ×3, first 2 shown]
	ds_store_b16 v9, v81
	ds_store_b16 v9, v84 offset:120
	ds_store_b16 v9, v87 offset:240
	;; [unrolled: 1-line block ×35, first 2 shown]
	global_wb scope:SCOPE_SE
	s_wait_dscnt 0x0
	s_barrier_signal -1
	s_barrier_wait -1
	global_inv scope:SCOPE_SE
	ds_load_u16 v27, v9 offset:1680
	ds_load_u16 v33, v9 offset:1800
	ds_load_u16 v13, v9
	ds_load_u16 v18, v9 offset:120
	ds_load_u16 v23, v9 offset:240
	;; [unrolled: 1-line block ×33, first 2 shown]
	global_wb scope:SCOPE_SE
	s_wait_dscnt 0x0
	s_barrier_signal -1
	s_barrier_wait -1
	global_inv scope:SCOPE_SE
	ds_store_b16 v9, v49
	ds_store_b16 v9, v50 offset:120
	ds_store_b16 v9, v51 offset:240
	;; [unrolled: 1-line block ×35, first 2 shown]
	global_wb scope:SCOPE_SE
	s_wait_dscnt 0x0
	s_barrier_signal -1
	s_barrier_wait -1
	global_inv scope:SCOPE_SE
	s_and_saveexec_b32 s0, vcc_lo
	s_cbranch_execz .LBB0_19
; %bb.18:
	v_mul_u32_u24_e32 v0, 5, v10
	v_mad_u32_u24 v7, v10, 5, 0xfffffed4
	v_mov_b32_e32 v8, 0
	v_add_co_u32 v69, s0, s4, v12
	s_delay_alu instid0(VALU_DEP_4)
	v_lshlrev_b32_e32 v2, 2, v0
	s_wait_alu 0xf1fe
	v_add_co_ci_u32_e64 v70, null, s5, 0, s0
	v_lshlrev_b64_e32 v[0:1], 2, v[7:8]
	v_mad_u32_u24 v7, v10, 5, 0xfffffda8
	s_clause 0x1
	global_load_b128 v[49:52], v2, s[4:5] offset:1400
	global_load_b32 v71, v2, s[4:5] offset:1416
	v_lshrrev_b32_e32 v11, 3, v11
	v_add_co_u32 v53, vcc_lo, s4, v0
	s_wait_alu 0xfffd
	v_add_co_ci_u32_e32 v54, vcc_lo, s5, v1, vcc_lo
	s_clause 0x1
	global_load_b128 v[0:3], v[53:54], off offset:1400
	global_load_b32 v72, v[53:54], off offset:1416
	v_lshlrev_b64_e32 v[53:54], 2, v[7:8]
	v_mad_u32_u24 v7, v10, 5, 0xfffffc7c
	v_mul_hi_u32 v11, 0x16c16c17, v11
	s_delay_alu instid0(VALU_DEP_3) | instskip(SKIP_1) | instid1(VALU_DEP_4)
	v_add_co_u32 v57, vcc_lo, s4, v53
	s_wait_alu 0xfffd
	v_add_co_ci_u32_e32 v58, vcc_lo, s5, v54, vcc_lo
	s_clause 0x1
	global_load_b128 v[53:56], v[57:58], off offset:1400
	global_load_b32 v73, v[57:58], off offset:1416
	v_lshlrev_b64_e32 v[57:58], 2, v[7:8]
	v_mad_u32_u24 v7, v10, 5, 0xfffffb50
	v_lshrrev_b32_e32 v11, 2, v11
	s_delay_alu instid0(VALU_DEP_3) | instskip(SKIP_1) | instid1(VALU_DEP_4)
	v_add_co_u32 v61, vcc_lo, s4, v57
	s_wait_alu 0xfffd
	v_add_co_ci_u32_e32 v62, vcc_lo, s5, v58, vcc_lo
	s_clause 0x1
	global_load_b128 v[57:60], v[61:62], off offset:1400
	global_load_b32 v74, v[61:62], off offset:1416
	v_lshlrev_b64_e32 v[61:62], 2, v[7:8]
	s_delay_alu instid0(VALU_DEP_1) | instskip(SKIP_1) | instid1(VALU_DEP_2)
	v_add_co_u32 v65, vcc_lo, s4, v61
	s_wait_alu 0xfffd
	v_add_co_ci_u32_e32 v66, vcc_lo, s5, v62, vcc_lo
	s_clause 0x1
	global_load_b128 v[61:64], v[65:66], off offset:1400
	global_load_b32 v7, v[65:66], off offset:1416
	ds_load_u16 v12, v9 offset:3480
	ds_load_u16 v75, v9 offset:2760
	ds_load_u16 v76, v9 offset:2640
	ds_load_u16 v77, v9 offset:2520
	ds_load_u16 v78, v9 offset:2400
	ds_load_u16 v79, v9 offset:2280
	ds_load_u16 v80, v9 offset:2160
	ds_load_u16 v81, v9 offset:2040
	ds_load_u16 v82, v9 offset:1920
	ds_load_u16 v83, v9 offset:1800
	ds_load_u16 v84, v9 offset:1680
	ds_load_u16 v85, v9 offset:1560
	ds_load_u16 v86, v9 offset:1440
	ds_load_u16 v87, v9 offset:1320
	ds_load_u16 v88, v9 offset:1200
	ds_load_u16 v89, v9 offset:1080
	ds_load_u16 v90, v9 offset:960
	ds_load_u16 v91, v9 offset:4200
	ds_load_u16 v92, v9 offset:4080
	ds_load_u16 v93, v9 offset:3960
	ds_load_u16 v94, v9 offset:3840
	ds_load_u16 v95, v9 offset:3720
	ds_load_u16 v96, v9 offset:3600
	ds_load_u16 v97, v9 offset:3360
	ds_load_u16 v98, v9 offset:3240
	ds_load_u16 v99, v9 offset:3120
	ds_load_u16 v100, v9 offset:3000
	ds_load_u16 v101, v9 offset:2880
	ds_load_u16 v102, v9 offset:840
	ds_load_u16 v103, v9 offset:720
	s_clause 0x1
	global_load_b128 v[65:68], v[69:70], off offset:1400
	global_load_b32 v69, v[69:70], off offset:1416
	v_add_co_u32 v4, vcc_lo, s8, v4
	s_wait_alu 0xfffd
	v_add_co_ci_u32_e32 v5, vcc_lo, s9, v5, vcc_lo
	ds_load_u16 v120, v9 offset:480
	s_wait_loadcnt 0xb
	v_lshrrev_b32_e32 v70, 16, v50
	v_lshrrev_b32_e32 v104, 16, v52
	;; [unrolled: 1-line block ×4, first 2 shown]
	s_wait_loadcnt 0xa
	v_lshrrev_b32_e32 v107, 16, v71
	v_mul_f16_e32 v108, v46, v70
	s_wait_dscnt 0x17
	v_mul_f16_e32 v70, v81, v70
	v_mul_f16_e32 v109, v47, v104
	;; [unrolled: 1-line block ×3, first 2 shown]
	s_wait_dscnt 0x11
	v_mul_f16_e32 v110, v105, v87
	v_fma_f16 v81, v50, v81, -v108
	v_fmac_f16_e32 v70, v46, v50
	ds_load_u16 v50, v9 offset:600
	v_mul_f16_e32 v111, v106, v75
	s_wait_dscnt 0xe
	v_mul_f16_e32 v112, v107, v91
	v_mul_f16_e32 v106, v45, v106
	;; [unrolled: 1-line block ×4, first 2 shown]
	s_wait_loadcnt 0x9
	v_lshrrev_b32_e32 v113, 16, v0
	v_lshrrev_b32_e32 v114, 16, v1
	v_lshrrev_b32_e32 v115, 16, v2
	v_lshrrev_b32_e32 v116, 16, v3
	s_wait_loadcnt 0x8
	v_lshrrev_b32_e32 v117, 16, v72
	v_fma_f16 v12, v52, v12, -v109
	v_fmac_f16_e32 v104, v47, v52
	v_fmac_f16_e32 v110, v44, v49
	v_fmac_f16_e32 v111, v45, v51
	v_fmac_f16_e32 v112, v48, v71
	v_fma_f16 v44, v51, v75, -v106
	v_fma_f16 v45, v71, v91, -v107
	;; [unrolled: 1-line block ×3, first 2 shown]
	v_mul_f16_e32 v47, v40, v114
	v_mul_f16_e32 v48, v41, v116
	;; [unrolled: 1-line block ×8, first 2 shown]
	s_wait_loadcnt 0x7
	v_lshrrev_b32_e32 v106, 16, v53
	v_lshrrev_b32_e32 v107, 16, v54
	;; [unrolled: 1-line block ×3, first 2 shown]
	s_wait_loadcnt 0x6
	v_lshrrev_b32_e32 v113, 16, v73
	s_wait_dscnt 0x8
	v_mul_f16_e32 v51, v97, v116
	v_mul_f16_e32 v75, v117, v92
	v_lshrrev_b32_e32 v109, 16, v56
	v_sub_f16_e32 v115, v70, v104
	v_add_f16_e32 v116, v111, v112
	v_sub_f16_e32 v117, v44, v45
	v_add_f16_e32 v118, v44, v45
	v_sub_f16_e32 v119, v111, v112
	s_wait_dscnt 0x0
	v_add_f16_e32 v121, v50, v81
	v_add_f16_e32 v44, v46, v44
	;; [unrolled: 1-line block ×5, first 2 shown]
	v_fma_f16 v47, v1, v82, -v47
	v_fma_f16 v48, v3, v97, -v48
	v_fmac_f16_e32 v49, v40, v1
	v_fmac_f16_e32 v71, v42, v2
	v_fma_f16 v1, v2, v76, -v87
	v_fma_f16 v2, v72, v92, -v91
	v_mul_f16_e32 v40, v83, v107
	v_mul_f16_e32 v42, v106, v89
	;; [unrolled: 1-line block ×4, first 2 shown]
	v_add_f16_e32 v114, v81, v12
	v_sub_f16_e32 v81, v81, v12
	v_fmac_f16_e32 v51, v41, v3
	v_fmac_f16_e32 v52, v39, v0
	;; [unrolled: 1-line block ×3, first 2 shown]
	v_fma_f16 v0, v0, v88, -v105
	v_mul_f16_e32 v3, v33, v107
	v_mul_f16_e32 v39, v35, v109
	;; [unrolled: 1-line block ×6, first 2 shown]
	s_wait_loadcnt 0x5
	v_lshrrev_b32_e32 v88, 16, v57
	v_lshrrev_b32_e32 v91, 16, v58
	;; [unrolled: 1-line block ×3, first 2 shown]
	s_wait_loadcnt 0x4
	v_lshrrev_b32_e32 v105, 16, v74
	v_fma_f16 v106, -0.5, v116, v110
	v_add_f16_e32 v12, v121, v12
	v_add_f16_e32 v44, v44, v45
	v_fma_f16 v38, -0.5, v122, v38
	v_add_f16_e32 v45, v70, v104
	v_add_f16_e32 v70, v111, v112
	;; [unrolled: 1-line block ×4, first 2 shown]
	ds_load_u16 v112, v9 offset:360
	v_fmac_f16_e32 v40, v33, v54
	v_fmac_f16_e32 v42, v34, v53
	v_fma_f16 v33, v55, v77, -v76
	v_fma_f16 v34, v73, v93, -v82
	v_lshrrev_b32_e32 v97, 16, v60
	v_fma_f16 v50, -0.5, v114, v50
	v_sub_f16_e32 v107, v49, v51
	v_add_f16_e32 v108, v71, v75
	v_sub_f16_e32 v109, v1, v2
	v_sub_f16_e32 v111, v71, v75
	v_add_f16_e32 v1, v0, v1
	v_add_f16_e32 v114, v49, v51
	;; [unrolled: 1-line block ×4, first 2 shown]
	v_fma_f16 v39, v56, v98, -v39
	v_fmac_f16_e32 v41, v35, v56
	v_fmac_f16_e32 v43, v36, v55
	;; [unrolled: 1-line block ×3, first 2 shown]
	v_fma_f16 v35, v53, v89, -v87
	v_mul_f16_e32 v53, v84, v91
	v_mul_f16_e32 v55, v88, v90
	;; [unrolled: 1-line block ×7, first 2 shown]
	s_wait_loadcnt 0x3
	v_lshrrev_b32_e32 v87, 16, v62
	v_lshrrev_b32_e32 v88, 16, v63
	v_sub_f16_e32 v98, v12, v44
	v_fmamk_f16 v105, v81, 0x3aee, v38
	v_fmac_f16_e32 v38, 0xbaee, v81
	v_sub_f16_e32 v81, v45, v70
	v_add_f16_e32 v12, v12, v44
	v_add_f16_e32 v44, v45, v70
	v_fma_f16 v45, -0.5, v104, v120
	v_fma_f16 v0, -0.5, v110, v0
	ds_load_u16 v110, v9 offset:240
	v_add_f16_e32 v104, v33, v34
	v_add_f16_e32 v113, v120, v47
	v_fma_f16 v3, v54, v83, -v3
	v_mul_f16_e32 v36, v27, v91
	v_mul_f16_e32 v54, v99, v97
	v_fma_f16 v52, -0.5, v108, v52
	v_add_f16_e32 v1, v1, v2
	v_fma_f16 v2, -0.5, v114, v31
	v_add_f16_e32 v31, v49, v51
	v_add_f16_e32 v49, v71, v75
	;; [unrolled: 1-line block ×3, first 2 shown]
	v_sub_f16_e32 v75, v33, v34
	v_sub_f16_e32 v108, v43, v72
	v_add_f16_e32 v33, v35, v33
	v_fmac_f16_e32 v53, v27, v58
	v_fmac_f16_e32 v55, v28, v57
	;; [unrolled: 1-line block ×4, first 2 shown]
	v_fma_f16 v27, v59, v78, -v76
	v_fma_f16 v28, v74, v94, -v77
	ds_load_u16 v94, v9 offset:120
	v_mul_f16_e32 v30, v22, v87
	v_mul_f16_e32 v59, v88, v79
	;; [unrolled: 1-line block ×3, first 2 shown]
	v_fmamk_f16 v88, v111, 0xbaee, v0
	v_fmac_f16_e32 v0, 0x3aee, v111
	v_fma_f16 v35, -0.5, v104, v35
	v_sub_f16_e32 v47, v47, v48
	v_mul_f16_e32 v37, v29, v97
	v_lshrrev_b32_e32 v83, 16, v61
	s_wait_loadcnt 0x2
	v_lshrrev_b32_e32 v91, 16, v7
	v_add_f16_e32 v48, v113, v48
	v_add_f16_e32 v51, v3, v39
	;; [unrolled: 1-line block ×3, first 2 shown]
	v_fmac_f16_e32 v54, v29, v60
	v_fma_f16 v29, v57, v90, -v82
	v_mul_f16_e32 v57, v85, v87
	v_fmamk_f16 v87, v109, 0x3aee, v52
	v_fmac_f16_e32 v52, 0xbaee, v109
	v_fma_f16 v42, -0.5, v71, v42
	v_fma_f16 v30, v62, v85, -v30
	v_fmac_f16_e32 v59, v25, v63
	v_fma_f16 v25, v63, v79, -v74
	v_mul_f16_e32 v74, 0.5, v0
	v_mul_f16_e32 v0, 0xbaee, v0
	v_fmamk_f16 v85, v108, 0xbaee, v35
	v_fmac_f16_e32 v35, 0x3aee, v108
	v_fma_f16 v46, -0.5, v118, v46
	v_sub_f16_e32 v70, v40, v41
	v_add_f16_e32 v114, v40, v41
	v_add_f16_e32 v40, v24, v40
	v_fma_f16 v37, v60, v99, -v37
	v_mul_f16_e32 v60, v91, v95
	v_mul_f16_e32 v76, v26, v91
	v_mul_f16_e32 v77, v21, v83
	v_sub_f16_e32 v90, v48, v1
	v_add_f16_e32 v48, v48, v1
	s_wait_dscnt 0x2
	v_fma_f16 v1, -0.5, v51, v112
	v_add_f16_e32 v71, v27, v28
	v_mul_f16_e32 v63, -0.5, v88
	v_fmamk_f16 v79, v75, 0x3aee, v42
	v_fmac_f16_e32 v42, 0xbaee, v75
	v_fmac_f16_e32 v74, 0x3aee, v52
	v_fmac_f16_e32 v0, 0.5, v52
	v_mul_f16_e32 v52, 0.5, v35
	v_lshrrev_b32_e32 v89, 16, v64
	v_fmamk_f16 v97, v119, 0xbaee, v46
	v_fmac_f16_e32 v46, 0x3aee, v119
	v_fma_f16 v36, v58, v84, -v36
	v_fmamk_f16 v84, v107, 0xbaee, v45
	v_add_f16_e32 v33, v33, v34
	v_add_f16_e32 v34, v40, v41
	;; [unrolled: 1-line block ×3, first 2 shown]
	v_sub_f16_e32 v51, v27, v28
	v_sub_f16_e32 v72, v56, v73
	v_add_f16_e32 v27, v29, v27
	v_fmac_f16_e32 v60, v26, v7
	v_fma_f16 v7, v7, v95, -v76
	v_fma_f16 v26, v61, v102, -v77
	v_mul_f16_e32 v76, 0xbaee, v88
	v_fmamk_f16 v77, v70, 0xbaee, v1
	v_fmac_f16_e32 v1, 0x3aee, v70
	v_fma_f16 v29, -0.5, v71, v29
	v_fmac_f16_e32 v63, 0x3aee, v87
	v_fmac_f16_e32 v52, 0x3aee, v42
	v_fmamk_f16 v93, v117, 0x3aee, v106
	v_fmac_f16_e32 v106, 0xbaee, v117
	v_add_f16_e32 v113, v112, v3
	v_sub_f16_e32 v3, v3, v39
	v_mul_f16_e32 v58, v83, v102
	v_mul_f16_e32 v82, 0.5, v46
	v_mul_f16_e32 v46, 0xbaee, v46
	v_fmamk_f16 v91, v47, 0x3aee, v2
	v_fmac_f16_e32 v2, 0xbaee, v47
	v_sub_f16_e32 v47, v31, v49
	v_add_f16_e32 v31, v31, v49
	v_fma_f16 v24, -0.5, v114, v24
	v_sub_f16_e32 v43, v53, v54
	v_add_f16_e32 v49, v56, v73
	v_add_f16_e32 v99, v53, v54
	;; [unrolled: 1-line block ×3, first 2 shown]
	v_fmac_f16_e32 v76, -0.5, v87
	v_fmamk_f16 v87, v72, 0xbaee, v29
	v_fmac_f16_e32 v29, 0x3aee, v72
	v_sub_f16_e32 v72, v84, v63
	v_add_f16_e32 v63, v84, v63
	v_sub_f16_e32 v84, v1, v52
	v_add_f16_e32 v52, v1, v52
	v_mul_f16_e32 v1, v100, v89
	v_fmamk_f16 v92, v115, 0xbaee, v50
	v_fmac_f16_e32 v50, 0x3aee, v115
	v_mul_f16_e32 v32, v20, v89
	v_fmac_f16_e32 v82, 0x3aee, v106
	v_fmac_f16_e32 v46, 0.5, v106
	v_fmamk_f16 v75, v3, 0x3aee, v24
	v_fmac_f16_e32 v24, 0xbaee, v3
	v_sub_f16_e32 v3, v34, v40
	v_add_f16_e32 v34, v34, v40
	v_fma_f16 v40, -0.5, v49, v55
	v_add_f16_e32 v27, v27, v28
	v_add_f16_e32 v28, v53, v54
	;; [unrolled: 1-line block ×3, first 2 shown]
	v_mul_f16_e32 v35, 0xbaee, v35
	v_fmac_f16_e32 v58, v21, v61
	v_add_f16_e32 v21, v59, v60
	v_fmac_f16_e32 v57, v22, v62
	v_fmac_f16_e32 v1, v20, v64
	v_mul_f16_e32 v78, -0.5, v97
	v_mul_f16_e32 v83, 0xbaee, v97
	v_add_f16_e32 v39, v113, v39
	v_add_f16_e32 v41, v36, v37
	s_wait_dscnt 0x1
	v_add_f16_e32 v97, v110, v36
	v_sub_f16_e32 v36, v36, v37
	v_add_f16_e32 v56, v55, v56
	v_fma_f16 v32, v64, v100, -v32
	v_fma_f16 v23, -0.5, v99, v23
	v_sub_f16_e32 v55, v50, v82
	v_sub_f16_e32 v71, v38, v46
	v_add_f16_e32 v50, v50, v82
	v_add_f16_e32 v38, v38, v46
	v_mul_f16_e32 v46, -0.5, v85
	v_mul_f16_e32 v82, 0xbaee, v85
	v_fmamk_f16 v85, v51, 0x3aee, v40
	v_fmac_f16_e32 v35, 0.5, v42
	v_mul_f16_e32 v42, 0xbaee, v87
	v_fma_f16 v53, -0.5, v53, v26
	v_fma_f16 v20, -0.5, v21, v58
	v_sub_f16_e32 v21, v25, v7
	v_add_f16_e32 v25, v26, v25
	v_add_f16_e32 v26, v57, v1
	v_fmac_f16_e32 v45, 0x3aee, v107
	v_fmac_f16_e32 v78, 0x3aee, v93
	v_fmac_f16_e32 v83, -0.5, v93
	v_sub_f16_e32 v70, v39, v33
	v_add_f16_e32 v33, v39, v33
	v_fma_f16 v39, -0.5, v41, v110
	v_add_f16_e32 v37, v97, v37
	v_fmac_f16_e32 v40, 0xbaee, v51
	v_fmamk_f16 v51, v36, 0x3aee, v23
	v_fmac_f16_e32 v46, 0x3aee, v79
	v_fmac_f16_e32 v42, -0.5, v85
	v_add_f16_e32 v7, v25, v7
	v_fma_f16 v25, -0.5, v26, v18
	v_sub_f16_e32 v26, v30, v32
	v_add_f16_e32 v41, v56, v73
	v_sub_f16_e32 v54, v92, v78
	v_sub_f16_e32 v56, v105, v83
	v_add_f16_e32 v73, v92, v78
	v_add_f16_e32 v78, v105, v83
	v_fmamk_f16 v83, v43, 0xbaee, v39
	v_fmac_f16_e32 v39, 0x3aee, v43
	v_sub_f16_e32 v43, v37, v27
	v_sub_f16_e32 v88, v45, v74
	;; [unrolled: 1-line block ×4, first 2 shown]
	v_add_f16_e32 v45, v45, v74
	v_add_f16_e32 v74, v91, v76
	;; [unrolled: 1-line block ×3, first 2 shown]
	v_fmac_f16_e32 v82, -0.5, v79
	v_mul_f16_e32 v2, 0.5, v29
	v_sub_f16_e32 v79, v77, v46
	v_add_f16_e32 v46, v77, v46
	v_sub_f16_e32 v77, v51, v42
	v_sub_f16_e32 v61, v59, v60
	v_add_f16_e32 v27, v37, v27
	v_add_f16_e32 v37, v51, v42
	v_fmamk_f16 v42, v26, 0x3aee, v25
	v_fmac_f16_e32 v25, 0xbaee, v26
	s_wait_loadcnt 0x1
	v_lshrrev_b32_e32 v26, 16, v68
	v_add_f16_e32 v49, v30, v32
	v_mul_f16_e32 v0, -0.5, v87
	v_mul_f16_e32 v29, 0xbaee, v29
	v_fmac_f16_e32 v2, 0x3aee, v40
	v_fmamk_f16 v22, v61, 0xbaee, v53
	v_fmac_f16_e32 v53, 0x3aee, v61
	v_add_f16_e32 v18, v18, v57
	v_mul_f16_e32 v61, v14, v26
	v_fmac_f16_e32 v0, 0x3aee, v85
	v_fmac_f16_e32 v29, 0.5, v40
	v_sub_f16_e32 v40, v39, v2
	s_wait_dscnt 0x0
	v_fma_f16 v49, -0.5, v49, v94
	v_sub_f16_e32 v62, v57, v1
	v_add_f16_e32 v2, v39, v2
	v_add_f16_e32 v39, v94, v30
	;; [unrolled: 1-line block ×4, first 2 shown]
	v_lshrrev_b32_e32 v58, 16, v67
	v_fma_f16 v59, v68, v101, -v61
	s_wait_loadcnt 0x0
	v_lshrrev_b32_e32 v61, 16, v69
	v_sub_f16_e32 v91, v24, v35
	v_add_f16_e32 v24, v24, v35
	v_sub_f16_e32 v35, v83, v0
	ds_load_u16 v9, v9
	v_fmamk_f16 v64, v21, 0x3aee, v20
	v_add_f16_e32 v83, v83, v0
	v_fmamk_f16 v0, v62, 0xbaee, v49
	v_fmac_f16_e32 v20, 0xbaee, v21
	v_mul_f16_e32 v21, 0.5, v53
	v_fmac_f16_e32 v49, 0x3aee, v62
	v_add_f16_e32 v39, v39, v32
	v_mul_f16_e32 v32, 0xbaee, v53
	v_add_f16_e32 v18, v18, v60
	v_lshrrev_b32_e32 v60, 16, v65
	v_mul_f16_e32 v62, v17, v58
	v_mul_f16_e32 v89, v19, v61
	v_fmac_f16_e32 v21, 0x3aee, v20
	v_fmac_f16_e32 v32, 0.5, v20
	v_lshrrev_b32_e32 v20, 16, v66
	v_mul_f16_e32 v58, v58, v80
	v_mul_f16_e32 v61, v61, v96
	v_fma_f16 v62, v67, v80, -v62
	v_mul_f16_e32 v80, v15, v60
	v_fma_f16 v89, v69, v96, -v89
	v_mul_f16_e32 v57, v16, v20
	v_mul_f16_e32 v60, v60, v103
	v_fmac_f16_e32 v58, v17, v67
	v_fmac_f16_e32 v61, v19, v69
	v_fma_f16 v17, v65, v103, -v80
	v_add_f16_e32 v19, v62, v89
	v_mul_f16_e32 v20, v86, v20
	v_mul_f16_e32 v26, v101, v26
	v_mul_f16_e32 v85, -0.5, v22
	v_mul_f16_e32 v22, 0xbaee, v22
	v_fma_f16 v57, v66, v86, -v57
	v_fmac_f16_e32 v60, v15, v65
	v_add_f16_e32 v15, v58, v61
	v_fma_f16 v19, -0.5, v19, v17
	v_sub_f16_e32 v65, v58, v61
	v_fmac_f16_e32 v20, v16, v66
	v_fmac_f16_e32 v26, v14, v68
	;; [unrolled: 1-line block ×3, first 2 shown]
	v_sub_f16_e32 v36, v28, v41
	v_fmac_f16_e32 v85, 0x3aee, v64
	v_add_f16_e32 v28, v28, v41
	v_sub_f16_e32 v41, v39, v7
	v_fmac_f16_e32 v22, -0.5, v64
	v_add_f16_e32 v64, v57, v59
	v_fma_f16 v14, -0.5, v15, v60
	v_sub_f16_e32 v15, v62, v89
	v_fmamk_f16 v16, v65, 0xbaee, v19
	v_sub_f16_e32 v66, v1, v18
	v_add_f16_e32 v39, v39, v7
	v_add_f16_e32 v18, v1, v18
	v_fmac_f16_e32 v19, 0x3aee, v65
	v_add_f16_e32 v1, v20, v26
	s_wait_dscnt 0x0
	v_add_f16_e32 v7, v9, v57
	v_sub_f16_e32 v51, v42, v22
	v_fma_f16 v64, -0.5, v64, v9
	v_sub_f16_e32 v67, v20, v26
	v_fmamk_f16 v68, v15, 0x3aee, v14
	v_mul_f16_e32 v69, -0.5, v16
	v_add_f16_e32 v22, v42, v22
	v_fmac_f16_e32 v14, 0xbaee, v15
	v_mul_f16_e32 v15, 0.5, v19
	v_add_f16_e32 v9, v17, v62
	v_fma_f16 v1, -0.5, v1, v13
	v_sub_f16_e32 v17, v57, v59
	v_add_f16_e32 v42, v7, v59
	v_mul_f16_e32 v19, 0xbaee, v19
	v_add_f16_e32 v7, v13, v20
	v_add_f16_e32 v13, v60, v58
	v_sub_f16_e32 v87, v75, v82
	v_add_f16_e32 v75, v75, v82
	v_sub_f16_e32 v82, v23, v29
	v_add_f16_e32 v23, v23, v29
	v_sub_f16_e32 v29, v0, v85
	v_sub_f16_e32 v30, v49, v21
	v_add_f16_e32 v80, v0, v85
	v_add_f16_e32 v21, v49, v21
	v_fmamk_f16 v0, v67, 0xbaee, v64
	v_fmac_f16_e32 v69, 0x3aee, v68
	v_fmac_f16_e32 v15, 0x3aee, v14
	v_fmamk_f16 v49, v17, 0x3aee, v1
	v_fmac_f16_e32 v1, 0xbaee, v17
	v_fmac_f16_e32 v19, 0.5, v14
	v_add_f16_e32 v14, v7, v26
	v_mov_b32_e32 v7, v8
	v_mul_f16_e32 v16, 0xbaee, v16
	v_add_f16_e32 v9, v9, v89
	v_add_f16_e32 v13, v13, v61
	v_sub_f16_e32 v53, v25, v32
	v_add_f16_e32 v25, v25, v32
	v_sub_f16_e32 v32, v0, v69
	v_fmac_f16_e32 v64, 0x3aee, v67
	v_sub_f16_e32 v57, v1, v19
	v_add_f16_e32 v59, v0, v69
	v_add_f16_e32 v19, v1, v19
	v_lshlrev_b64_e32 v[0:1], 2, v[6:7]
	v_fmac_f16_e32 v16, -0.5, v68
	v_sub_f16_e32 v20, v42, v9
	v_add_f16_e32 v9, v42, v9
	v_add_f16_e32 v6, v14, v13
	v_sub_f16_e32 v17, v64, v15
	v_add_f16_e32 v15, v64, v15
	v_sub_f16_e32 v26, v49, v16
	v_add_f16_e32 v16, v49, v16
	v_add_co_u32 v0, vcc_lo, v4, v0
	s_wait_alu 0xfffd
	v_add_co_ci_u32_e32 v1, vcc_lo, v5, v1, vcc_lo
	v_pack_b32_f16 v4, v6, v9
	v_sub_f16_e32 v58, v14, v13
	v_pack_b32_f16 v14, v18, v39
	v_pack_b32_f16 v5, v19, v15
	v_pack_b32_f16 v19, v28, v27
	v_pack_b32_f16 v6, v16, v59
	v_pack_b32_f16 v16, v22, v80
	s_clause 0x2
	global_store_b32 v[0:1], v4, off
	global_store_b32 v[0:1], v14, off offset:240
	global_store_b32 v[0:1], v19, off offset:480
	v_pack_b32_f16 v4, v37, v83
	v_pack_b32_f16 v7, v57, v17
	;; [unrolled: 1-line block ×5, first 2 shown]
	s_clause 0x2
	global_store_b32 v[0:1], v6, off offset:2880
	global_store_b32 v[0:1], v16, off offset:3120
	;; [unrolled: 1-line block ×3, first 2 shown]
	v_pack_b32_f16 v6, v82, v40
	v_pack_b32_f16 v2, v23, v2
	s_clause 0x2
	global_store_b32 v[0:1], v7, off offset:5760
	global_store_b32 v[0:1], v18, off offset:6000
	global_store_b32 v[0:1], v6, off offset:6240
	v_pack_b32_f16 v7, v24, v52
	v_pack_b32_f16 v14, v75, v46
	v_pack_b32_f16 v9, v58, v20
	s_clause 0x5
	global_store_b32 v[0:1], v21, off offset:720
	global_store_b32 v[0:1], v5, off offset:1440
	global_store_b32 v[0:1], v15, off offset:1680
	global_store_b32 v[0:1], v2, off offset:1920
	global_store_b32 v[0:1], v7, off offset:2160
	global_store_b32 v[0:1], v14, off offset:3600
	v_pack_b32_f16 v2, v3, v70
	v_lshrrev_b32_e32 v3, 3, v10
	v_pack_b32_f16 v17, v66, v41
	v_pack_b32_f16 v4, v36, v43
	s_clause 0x3
	global_store_b32 v[0:1], v9, off offset:4320
	global_store_b32 v[0:1], v17, off offset:4560
	;; [unrolled: 1-line block ×4, first 2 shown]
	v_mul_hi_u32 v4, 0x16c16c17, v3
	v_mul_u32_u24_e32 v7, 0x708, v11
	v_pack_b32_f16 v13, v26, v32
	v_pack_b32_f16 v16, v91, v84
	;; [unrolled: 1-line block ×4, first 2 shown]
	v_lshlrev_b64_e32 v[2:3], 2, v[7:8]
	v_pack_b32_f16 v5, v87, v79
	v_lshrrev_b32_e32 v4, 2, v4
	s_clause 0x4
	global_store_b32 v[0:1], v16, off offset:6480
	global_store_b32 v[0:1], v13, off offset:7200
	;; [unrolled: 1-line block ×5, first 2 shown]
	v_pack_b32_f16 v6, v31, v48
	v_add_co_u32 v2, vcc_lo, v0, v2
	v_mul_u32_u24_e32 v7, 0x708, v4
	s_wait_alu 0xfffd
	v_add_co_ci_u32_e32 v3, vcc_lo, v1, v3, vcc_lo
	v_pack_b32_f16 v9, v76, v45
	v_pack_b32_f16 v10, v74, v63
	v_lshlrev_b64_e32 v[4:5], 2, v[7:8]
	v_pack_b32_f16 v11, v47, v90
	v_pack_b32_f16 v13, v93, v88
	;; [unrolled: 1-line block ×3, first 2 shown]
	s_clause 0x5
	global_store_b32 v[2:3], v6, off offset:960
	global_store_b32 v[2:3], v9, off offset:2400
	;; [unrolled: 1-line block ×6, first 2 shown]
	v_pack_b32_f16 v2, v44, v12
	v_add_co_u32 v0, vcc_lo, v0, v4
	s_wait_alu 0xfffd
	v_add_co_ci_u32_e32 v1, vcc_lo, v1, v5, vcc_lo
	v_pack_b32_f16 v3, v38, v50
	v_pack_b32_f16 v4, v78, v73
	;; [unrolled: 1-line block ×5, first 2 shown]
	s_clause 0x5
	global_store_b32 v[0:1], v2, off offset:1200
	global_store_b32 v[0:1], v3, off offset:2640
	;; [unrolled: 1-line block ×6, first 2 shown]
.LBB0_19:
	s_nop 0
	s_sendmsg sendmsg(MSG_DEALLOC_VGPRS)
	s_endpgm
	.section	.rodata,"a",@progbits
	.p2align	6, 0x0
	.amdhsa_kernel fft_rtc_back_len2160_factors_10_6_6_6_wgs_60_tpt_60_halfLds_half_ip_CI_unitstride_sbrr_dirReg
		.amdhsa_group_segment_fixed_size 0
		.amdhsa_private_segment_fixed_size 0
		.amdhsa_kernarg_size 88
		.amdhsa_user_sgpr_count 2
		.amdhsa_user_sgpr_dispatch_ptr 0
		.amdhsa_user_sgpr_queue_ptr 0
		.amdhsa_user_sgpr_kernarg_segment_ptr 1
		.amdhsa_user_sgpr_dispatch_id 0
		.amdhsa_user_sgpr_private_segment_size 0
		.amdhsa_wavefront_size32 1
		.amdhsa_uses_dynamic_stack 0
		.amdhsa_enable_private_segment 0
		.amdhsa_system_sgpr_workgroup_id_x 1
		.amdhsa_system_sgpr_workgroup_id_y 0
		.amdhsa_system_sgpr_workgroup_id_z 0
		.amdhsa_system_sgpr_workgroup_info 0
		.amdhsa_system_vgpr_workitem_id 0
		.amdhsa_next_free_vgpr 143
		.amdhsa_next_free_sgpr 32
		.amdhsa_reserve_vcc 1
		.amdhsa_float_round_mode_32 0
		.amdhsa_float_round_mode_16_64 0
		.amdhsa_float_denorm_mode_32 3
		.amdhsa_float_denorm_mode_16_64 3
		.amdhsa_fp16_overflow 0
		.amdhsa_workgroup_processor_mode 1
		.amdhsa_memory_ordered 1
		.amdhsa_forward_progress 0
		.amdhsa_round_robin_scheduling 0
		.amdhsa_exception_fp_ieee_invalid_op 0
		.amdhsa_exception_fp_denorm_src 0
		.amdhsa_exception_fp_ieee_div_zero 0
		.amdhsa_exception_fp_ieee_overflow 0
		.amdhsa_exception_fp_ieee_underflow 0
		.amdhsa_exception_fp_ieee_inexact 0
		.amdhsa_exception_int_div_zero 0
	.end_amdhsa_kernel
	.text
.Lfunc_end0:
	.size	fft_rtc_back_len2160_factors_10_6_6_6_wgs_60_tpt_60_halfLds_half_ip_CI_unitstride_sbrr_dirReg, .Lfunc_end0-fft_rtc_back_len2160_factors_10_6_6_6_wgs_60_tpt_60_halfLds_half_ip_CI_unitstride_sbrr_dirReg
                                        ; -- End function
	.section	.AMDGPU.csdata,"",@progbits
; Kernel info:
; codeLenInByte = 18792
; NumSgprs: 34
; NumVgprs: 143
; ScratchSize: 0
; MemoryBound: 0
; FloatMode: 240
; IeeeMode: 1
; LDSByteSize: 0 bytes/workgroup (compile time only)
; SGPRBlocks: 4
; VGPRBlocks: 17
; NumSGPRsForWavesPerEU: 34
; NumVGPRsForWavesPerEU: 143
; Occupancy: 10
; WaveLimiterHint : 1
; COMPUTE_PGM_RSRC2:SCRATCH_EN: 0
; COMPUTE_PGM_RSRC2:USER_SGPR: 2
; COMPUTE_PGM_RSRC2:TRAP_HANDLER: 0
; COMPUTE_PGM_RSRC2:TGID_X_EN: 1
; COMPUTE_PGM_RSRC2:TGID_Y_EN: 0
; COMPUTE_PGM_RSRC2:TGID_Z_EN: 0
; COMPUTE_PGM_RSRC2:TIDIG_COMP_CNT: 0
	.text
	.p2alignl 7, 3214868480
	.fill 96, 4, 3214868480
	.type	__hip_cuid_11306afc5f8c34c9,@object ; @__hip_cuid_11306afc5f8c34c9
	.section	.bss,"aw",@nobits
	.globl	__hip_cuid_11306afc5f8c34c9
__hip_cuid_11306afc5f8c34c9:
	.byte	0                               ; 0x0
	.size	__hip_cuid_11306afc5f8c34c9, 1

	.ident	"AMD clang version 19.0.0git (https://github.com/RadeonOpenCompute/llvm-project roc-6.4.0 25133 c7fe45cf4b819c5991fe208aaa96edf142730f1d)"
	.section	".note.GNU-stack","",@progbits
	.addrsig
	.addrsig_sym __hip_cuid_11306afc5f8c34c9
	.amdgpu_metadata
---
amdhsa.kernels:
  - .args:
      - .actual_access:  read_only
        .address_space:  global
        .offset:         0
        .size:           8
        .value_kind:     global_buffer
      - .offset:         8
        .size:           8
        .value_kind:     by_value
      - .actual_access:  read_only
        .address_space:  global
        .offset:         16
        .size:           8
        .value_kind:     global_buffer
      - .actual_access:  read_only
        .address_space:  global
        .offset:         24
        .size:           8
        .value_kind:     global_buffer
      - .offset:         32
        .size:           8
        .value_kind:     by_value
      - .actual_access:  read_only
        .address_space:  global
        .offset:         40
        .size:           8
        .value_kind:     global_buffer
      - .actual_access:  read_only
        .address_space:  global
        .offset:         48
        .size:           8
        .value_kind:     global_buffer
      - .offset:         56
        .size:           4
        .value_kind:     by_value
      - .actual_access:  read_only
        .address_space:  global
        .offset:         64
        .size:           8
        .value_kind:     global_buffer
      - .actual_access:  read_only
        .address_space:  global
        .offset:         72
        .size:           8
        .value_kind:     global_buffer
      - .address_space:  global
        .offset:         80
        .size:           8
        .value_kind:     global_buffer
    .group_segment_fixed_size: 0
    .kernarg_segment_align: 8
    .kernarg_segment_size: 88
    .language:       OpenCL C
    .language_version:
      - 2
      - 0
    .max_flat_workgroup_size: 60
    .name:           fft_rtc_back_len2160_factors_10_6_6_6_wgs_60_tpt_60_halfLds_half_ip_CI_unitstride_sbrr_dirReg
    .private_segment_fixed_size: 0
    .sgpr_count:     34
    .sgpr_spill_count: 0
    .symbol:         fft_rtc_back_len2160_factors_10_6_6_6_wgs_60_tpt_60_halfLds_half_ip_CI_unitstride_sbrr_dirReg.kd
    .uniform_work_group_size: 1
    .uses_dynamic_stack: false
    .vgpr_count:     143
    .vgpr_spill_count: 0
    .wavefront_size: 32
    .workgroup_processor_mode: 1
amdhsa.target:   amdgcn-amd-amdhsa--gfx1201
amdhsa.version:
  - 1
  - 2
...

	.end_amdgpu_metadata
